;; amdgpu-corpus repo=ROCm/rocFFT kind=compiled arch=gfx950 opt=O3
	.text
	.amdgcn_target "amdgcn-amd-amdhsa--gfx950"
	.amdhsa_code_object_version 6
	.protected	bluestein_single_fwd_len68_dim1_sp_op_CI_CI ; -- Begin function bluestein_single_fwd_len68_dim1_sp_op_CI_CI
	.globl	bluestein_single_fwd_len68_dim1_sp_op_CI_CI
	.p2align	8
	.type	bluestein_single_fwd_len68_dim1_sp_op_CI_CI,@function
bluestein_single_fwd_len68_dim1_sp_op_CI_CI: ; @bluestein_single_fwd_len68_dim1_sp_op_CI_CI
; %bb.0:
	s_load_dwordx4 s[8:11], s[0:1], 0x28
	v_mul_u32_u24_e32 v1, 0xf10, v0
	v_lshrrev_b32_e32 v2, 16, v1
	v_mad_u64_u32 v[224:225], s[2:3], s2, 15, v[2:3]
	v_mov_b32_e32 v225, 0
	s_waitcnt lgkmcnt(0)
	v_cmp_gt_u64_e32 vcc, s[8:9], v[224:225]
	s_and_saveexec_b64 s[2:3], vcc
	s_cbranch_execz .LBB0_15
; %bb.1:
	v_mul_lo_u16_e32 v1, 17, v2
	s_mov_b32 s2, 0x88888889
	v_sub_u16_e32 v228, v0, v1
	v_mul_hi_u32 v0, v224, s2
	v_lshrrev_b32_e32 v0, 3, v0
	s_load_dwordx2 s[8:9], s[0:1], 0x0
	s_load_dwordx2 s[12:13], s[0:1], 0x38
	v_mul_lo_u32 v0, v0, 15
	v_sub_u32_e32 v0, v224, v0
	v_mul_u32_u24_e32 v190, 0x44, v0
	v_or_b32_e32 v0, v190, v228
	v_cmp_gt_u16_e32 vcc, 4, v228
	v_lshlrev_b32_e32 v231, 3, v228
	v_lshlrev_b32_e32 v225, 3, v0
	v_or_b32_e32 v223, 4, v228
	v_or_b32_e32 v222, 8, v228
	;; [unrolled: 1-line block ×16, first 2 shown]
	s_and_saveexec_b64 s[2:3], vcc
	s_cbranch_execz .LBB0_3
; %bb.2:
	s_load_dwordx2 s[4:5], s[0:1], 0x18
	v_mov_b32_e32 v0, s10
	v_mov_b32_e32 v1, s11
	s_waitcnt lgkmcnt(0)
	s_load_dwordx4 s[4:7], s[4:5], 0x0
	s_waitcnt lgkmcnt(0)
	v_mad_u64_u32 v[2:3], s[10:11], s6, v224, 0
	v_mad_u64_u32 v[4:5], s[10:11], s4, v228, 0
	v_mov_b32_e32 v6, v3
	v_mov_b32_e32 v8, v5
	v_mad_u64_u32 v[6:7], s[6:7], s7, v224, v[6:7]
	v_mov_b32_e32 v3, v6
	v_mad_u64_u32 v[6:7], s[6:7], s5, v228, v[8:9]
	v_mov_b32_e32 v5, v6
	v_lshl_add_u64 v[0:1], v[2:3], 3, v[0:1]
	v_mad_u64_u32 v[2:3], s[6:7], s4, v223, 0
	v_lshl_add_u64 v[18:19], v[4:5], 3, v[0:1]
	v_mov_b32_e32 v4, v3
	v_mad_u64_u32 v[4:5], s[6:7], s5, v223, v[4:5]
	v_mov_b32_e32 v3, v4
	v_lshl_add_u64 v[20:21], v[2:3], 3, v[0:1]
	v_mad_u64_u32 v[2:3], s[6:7], s4, v222, 0
	v_mov_b32_e32 v4, v3
	v_mad_u64_u32 v[4:5], s[6:7], s5, v222, v[4:5]
	v_mov_b32_e32 v3, v4
	v_lshl_add_u64 v[22:23], v[2:3], 3, v[0:1]
	v_mad_u64_u32 v[2:3], s[6:7], s4, v221, 0
	v_mov_b32_e32 v4, v3
	v_mad_u64_u32 v[4:5], s[6:7], s5, v221, v[4:5]
	v_mov_b32_e32 v3, v4
	v_lshl_add_u64 v[24:25], v[2:3], 3, v[0:1]
	global_load_dwordx2 v[14:15], v[18:19], off
	global_load_dwordx2 v[8:9], v[20:21], off
	;; [unrolled: 1-line block ×4, first 2 shown]
	global_load_dwordx2 v[16:17], v231, s[8:9]
	global_load_dwordx2 v[12:13], v231, s[8:9] offset:32
	global_load_dwordx2 v[10:11], v231, s[8:9] offset:64
	;; [unrolled: 1-line block ×3, first 2 shown]
	v_mad_u64_u32 v[18:19], s[6:7], s4, v220, 0
	v_mov_b32_e32 v20, v19
	v_mad_u64_u32 v[20:21], s[6:7], s5, v220, v[20:21]
	v_mov_b32_e32 v19, v20
	;; [unrolled: 2-line block ×7, first 2 shown]
	v_mad_u64_u32 v[26:27], s[6:7], s5, v217, v[26:27]
	v_lshl_add_u64 v[18:19], v[18:19], 3, v[0:1]
	v_mov_b32_e32 v25, v26
	v_lshl_add_u64 v[20:21], v[20:21], 3, v[0:1]
	v_lshl_add_u64 v[22:23], v[22:23], 3, v[0:1]
	;; [unrolled: 1-line block ×3, first 2 shown]
	global_load_dwordx2 v[26:27], v231, s[8:9] offset:128
	global_load_dwordx2 v[28:29], v231, s[8:9] offset:160
	global_load_dwordx2 v[30:31], v231, s[8:9] offset:192
	global_load_dwordx2 v[32:33], v231, s[8:9] offset:224
	global_load_dwordx2 v[36:37], v[18:19], off
	global_load_dwordx2 v[38:39], v[20:21], off
	;; [unrolled: 1-line block ×4, first 2 shown]
	v_mad_u64_u32 v[18:19], s[6:7], s4, v216, 0
	v_mov_b32_e32 v20, v19
	v_mad_u64_u32 v[20:21], s[6:7], s5, v216, v[20:21]
	v_mov_b32_e32 v19, v20
	;; [unrolled: 2-line block ×7, first 2 shown]
	v_mad_u64_u32 v[44:45], s[6:7], s5, v213, v[44:45]
	v_lshl_add_u64 v[18:19], v[18:19], 3, v[0:1]
	v_mov_b32_e32 v25, v44
	v_lshl_add_u64 v[20:21], v[20:21], 3, v[0:1]
	v_lshl_add_u64 v[22:23], v[22:23], 3, v[0:1]
	v_lshl_add_u64 v[24:25], v[24:25], 3, v[0:1]
	global_load_dwordx2 v[44:45], v[18:19], off
	global_load_dwordx2 v[46:47], v[20:21], off
	;; [unrolled: 1-line block ×4, first 2 shown]
	global_load_dwordx2 v[52:53], v231, s[8:9] offset:256
	global_load_dwordx2 v[54:55], v231, s[8:9] offset:288
	;; [unrolled: 1-line block ×4, first 2 shown]
	v_mad_u64_u32 v[18:19], s[6:7], s4, v212, 0
	v_mov_b32_e32 v20, v19
	v_mad_u64_u32 v[60:61], s[6:7], s4, v210, 0
	v_mad_u64_u32 v[20:21], s[6:7], s5, v212, v[20:21]
	v_mov_b32_e32 v62, v61
	v_mov_b32_e32 v19, v20
	v_mad_u64_u32 v[20:21], s[6:7], s4, v211, 0
	v_mad_u64_u32 v[62:63], s[6:7], s5, v210, v[62:63]
	v_mov_b32_e32 v22, v21
	;; [unrolled: 4-line block ×3, first 2 shown]
	v_mov_b32_e32 v21, v22
	v_mad_u64_u32 v[64:65], s[6:7], s5, v117, v[64:65]
	v_lshl_add_u64 v[18:19], v[18:19], 3, v[0:1]
	v_lshl_add_u64 v[20:21], v[20:21], 3, v[0:1]
	v_mov_b32_e32 v63, v64
	global_load_dwordx2 v[22:23], v231, s[8:9] offset:384
	global_load_dwordx2 v[24:25], v231, s[8:9] offset:416
	v_lshl_add_u64 v[60:61], v[60:61], 3, v[0:1]
	global_load_dwordx2 v[18:19], v[18:19], off
	v_lshl_add_u64 v[62:63], v[62:63], 3, v[0:1]
	global_load_dwordx2 v[64:65], v[20:21], off
	global_load_dwordx2 v[66:67], v[60:61], off
	;; [unrolled: 1-line block ×3, first 2 shown]
	global_load_dwordx2 v[70:71], v231, s[8:9] offset:448
	v_mad_u64_u32 v[20:21], s[6:7], s4, v116, 0
	v_mov_b32_e32 v60, v21
	v_mad_u64_u32 v[60:61], s[4:5], s5, v116, v[60:61]
	v_mov_b32_e32 v21, v60
	v_lshl_add_u64 v[0:1], v[20:21], 3, v[0:1]
	global_load_dwordx2 v[62:63], v231, s[8:9] offset:480
	global_load_dwordx2 v[20:21], v[0:1], off
	global_load_dwordx2 v[60:61], v231, s[8:9] offset:512
	s_waitcnt vmcnt(29)
	v_mul_f32_e32 v0, v14, v17
	v_fma_f32 v1, v15, v16, -v0
	v_mul_f32_e32 v0, v15, v17
	v_fmac_f32_e32 v0, v14, v16
	ds_write_b64 v225, v[0:1]
	s_waitcnt vmcnt(28)
	v_mul_f32_e32 v0, v8, v13
	v_mul_f32_e32 v14, v9, v13
	v_fma_f32 v15, v9, v12, -v0
	s_waitcnt vmcnt(27)
	v_mul_f32_e32 v0, v5, v11
	v_mul_f32_e32 v1, v4, v11
	v_fmac_f32_e32 v14, v8, v12
	v_lshl_add_u32 v16, v190, 3, v231
	v_fmac_f32_e32 v0, v4, v10
	v_fma_f32 v1, v5, v10, -v1
	ds_write2_b64 v16, v[14:15], v[0:1] offset0:4 offset1:8
	s_waitcnt vmcnt(26)
	v_mul_f32_e32 v0, v3, v7
	v_mul_f32_e32 v1, v2, v7
	v_fmac_f32_e32 v0, v2, v6
	v_fma_f32 v1, v3, v6, -v1
	s_waitcnt vmcnt(21)
	v_mul_f32_e32 v2, v37, v27
	v_mul_f32_e32 v3, v36, v27
	v_fmac_f32_e32 v2, v36, v26
	v_fma_f32 v3, v37, v26, -v3
	ds_write2_b64 v16, v[0:1], v[2:3] offset0:12 offset1:16
	s_waitcnt vmcnt(20)
	v_mul_f32_e32 v0, v39, v29
	v_mul_f32_e32 v1, v38, v29
	s_waitcnt vmcnt(19)
	v_mul_f32_e32 v2, v41, v31
	v_mul_f32_e32 v3, v40, v31
	v_fmac_f32_e32 v0, v38, v28
	v_fma_f32 v1, v39, v28, -v1
	v_fmac_f32_e32 v2, v40, v30
	v_fma_f32 v3, v41, v30, -v3
	ds_write2_b64 v16, v[0:1], v[2:3] offset0:20 offset1:24
	s_waitcnt vmcnt(18)
	v_mul_f32_e32 v0, v43, v33
	v_mul_f32_e32 v1, v42, v33
	v_fmac_f32_e32 v0, v42, v32
	s_waitcnt vmcnt(13)
	v_mul_f32_e32 v2, v45, v53
	v_mul_f32_e32 v3, v44, v53
	v_fma_f32 v1, v43, v32, -v1
	v_fmac_f32_e32 v2, v44, v52
	v_fma_f32 v3, v45, v52, -v3
	ds_write2_b64 v16, v[0:1], v[2:3] offset0:28 offset1:32
	s_waitcnt vmcnt(12)
	v_mul_f32_e32 v0, v47, v55
	v_mul_f32_e32 v1, v46, v55
	s_waitcnt vmcnt(11)
	v_mul_f32_e32 v2, v49, v57
	v_mul_f32_e32 v3, v48, v57
	v_fmac_f32_e32 v0, v46, v54
	v_fma_f32 v1, v47, v54, -v1
	v_fmac_f32_e32 v2, v48, v56
	v_fma_f32 v3, v49, v56, -v3
	ds_write2_b64 v16, v[0:1], v[2:3] offset0:36 offset1:40
	s_waitcnt vmcnt(10)
	v_mul_f32_e32 v0, v51, v59
	v_mul_f32_e32 v1, v50, v59
	v_fmac_f32_e32 v0, v50, v58
	v_fma_f32 v1, v51, v58, -v1
	s_waitcnt vmcnt(7)
	v_mul_f32_e32 v2, v19, v23
	v_mul_f32_e32 v3, v18, v23
	v_fmac_f32_e32 v2, v18, v22
	v_fma_f32 v3, v19, v22, -v3
	ds_write2_b64 v16, v[0:1], v[2:3] offset0:44 offset1:48
	s_waitcnt vmcnt(6)
	v_mul_f32_e32 v0, v65, v25
	v_mul_f32_e32 v1, v64, v25
	s_waitcnt vmcnt(3)
	v_mul_f32_e32 v2, v67, v71
	v_mul_f32_e32 v3, v66, v71
	v_fmac_f32_e32 v0, v64, v24
	v_fma_f32 v1, v65, v24, -v1
	v_fmac_f32_e32 v2, v66, v70
	v_fma_f32 v3, v67, v70, -v3
	ds_write2_b64 v16, v[0:1], v[2:3] offset0:52 offset1:56
	s_waitcnt vmcnt(2)
	v_mul_f32_e32 v0, v69, v63
	v_mul_f32_e32 v1, v68, v63
	s_waitcnt vmcnt(0)
	v_mul_f32_e32 v2, v21, v61
	v_mul_f32_e32 v3, v20, v61
	v_fmac_f32_e32 v0, v68, v62
	v_fma_f32 v1, v69, v62, -v1
	v_fmac_f32_e32 v2, v20, v60
	v_fma_f32 v3, v21, v60, -v3
	ds_write2_b64 v16, v[0:1], v[2:3] offset0:60 offset1:64
.LBB0_3:
	s_or_b64 exec, exec, s[2:3]
	s_load_dwordx2 s[2:3], s[0:1], 0x20
	s_load_dwordx2 s[4:5], s[0:1], 0x8
	v_mov_b32_e32 v36, 0
	v_lshlrev_b32_e32 v191, 3, v190
	v_mov_b32_e32 v37, 0
	s_waitcnt lgkmcnt(0)
	s_barrier
	s_waitcnt lgkmcnt(0)
                                        ; implicit-def: $vgpr2
                                        ; implicit-def: $vgpr4
                                        ; implicit-def: $vgpr8
                                        ; implicit-def: $vgpr14
                                        ; implicit-def: $vgpr18
                                        ; implicit-def: $vgpr26
                                        ; implicit-def: $vgpr22
                                        ; implicit-def: $vgpr30
	s_and_saveexec_b64 s[0:1], vcc
	s_cbranch_execz .LBB0_5
; %bb.4:
	v_lshl_add_u32 v16, v228, 3, v191
	ds_read_b64 v[36:37], v225
	ds_read2_b64 v[28:31], v16 offset0:4 offset1:8
	ds_read2_b64 v[12:15], v16 offset0:12 offset1:16
	;; [unrolled: 1-line block ×8, first 2 shown]
.LBB0_5:
	s_or_b64 exec, exec, s[0:1]
	s_mov_b32 s0, 0xbeb8f4ab
	s_waitcnt lgkmcnt(0)
	v_pk_add_f32 v[32:33], v[18:19], v[28:29]
	v_pk_add_f32 v[38:39], v[28:29], v[18:19] neg_lo:[0,1] neg_hi:[0,1]
	s_mov_b32 s1, 0x3f6eb680
	v_mov_b32_e32 v55, v33
	v_mov_b32_e32 v33, v38
	s_mov_b32 s46, s1
	s_mov_b32 s47, s0
	;; [unrolled: 1-line block ×3, first 2 shown]
	v_mov_b32_e32 v54, v39
	v_pk_mul_f32 v[52:53], v[32:33], s[46:47]
	v_pk_add_f32 v[98:99], v[30:31], v[16:17] neg_lo:[0,1] neg_hi:[0,1]
	s_mov_b32 s7, 0x3f3d2fb0
	v_pk_fma_f32 v[50:51], v[54:55], s[0:1], v[52:53]
	v_pk_fma_f32 v[38:39], v[54:55], s[0:1], v[52:53] neg_lo:[0,0,1] neg_hi:[0,0,1]
	v_pk_add_f32 v[40:41], v[30:31], v[16:17]
	s_mov_b32 s52, s7
	v_pk_mul_f32 v[42:43], v[98:99], s[6:7] op_sel:[1,0] op_sel_hi:[0,0]
	s_mov_b32 s10, 0xbf7ee86f
	s_mov_b32 s24, s7
	;; [unrolled: 1-line block ×3, first 2 shown]
	v_mov_b32_e32 v38, v50
	v_pk_fma_f32 v[60:61], v[40:41], s[52:53], v[42:43] op_sel_hi:[1,0,1]
	v_pk_fma_f32 v[62:63], v[40:41], s[52:53], v[42:43] op_sel_hi:[1,0,1] neg_lo:[0,0,1] neg_hi:[0,0,1]
	s_mov_b32 s11, 0x3dbcf732
	v_mov_b32_e32 v108, v40
	v_mov_b32_e32 v109, v98
	;; [unrolled: 1-line block ×3, first 2 shown]
	v_pk_mul_f32 v[56:57], v[32:33], s[24:25]
	v_pk_add_f32 v[38:39], v[38:39], v[36:37]
	v_mov_b32_e32 v40, v60
	v_mov_b32_e32 v41, v63
	s_mov_b32 s58, s11
	s_mov_b32 s59, s10
	;; [unrolled: 1-line block ×3, first 2 shown]
	v_mov_b32_e32 v58, v99
	v_pk_add_f32 v[38:39], v[40:41], v[38:39]
	v_pk_fma_f32 v[76:77], v[54:55], s[6:7], v[56:57]
	v_pk_fma_f32 v[40:41], v[54:55], s[6:7], v[56:57] neg_lo:[0,0,1] neg_hi:[0,0,1]
	v_pk_mul_f32 v[90:91], v[108:109], s[58:59]
	s_mov_b32 s15, 0x3ee437d1
	s_mov_b32 s16, 0xbf4c4adb
	v_mov_b32_e32 v40, v76
	v_pk_fma_f32 v[82:83], v[58:59], s[10:11], v[90:91]
	v_pk_fma_f32 v[42:43], v[58:59], s[10:11], v[90:91] neg_lo:[0,0,1] neg_hi:[0,0,1]
	s_mov_b32 s18, s15
	s_mov_b32 s19, s14
	;; [unrolled: 1-line block ×3, first 2 shown]
	v_pk_add_f32 v[40:41], v[40:41], v[36:37]
	v_mov_b32_e32 v42, v82
	s_mov_b32 s40, s17
	s_mov_b32 s41, s16
	v_pk_mul_f32 v[104:105], v[32:33], s[18:19]
	v_pk_add_f32 v[40:41], v[42:43], v[40:41]
	v_pk_fma_f32 v[102:103], v[54:55], s[14:15], v[104:105]
	v_pk_fma_f32 v[42:43], v[54:55], s[14:15], v[104:105] neg_lo:[0,0,1] neg_hi:[0,0,1]
	v_pk_mul_f32 v[110:111], v[108:109], s[40:41]
	v_mov_b32_e32 v42, v102
	v_pk_fma_f32 v[106:107], v[58:59], s[16:17], v[110:111]
	v_pk_fma_f32 v[44:45], v[58:59], s[16:17], v[110:111] neg_lo:[0,0,1] neg_hi:[0,0,1]
	v_pk_add_f32 v[42:43], v[42:43], v[36:37]
	v_mov_b32_e32 v44, v106
	v_pk_add_f32 v[124:125], v[12:13], v[10:11] neg_lo:[0,1] neg_hi:[0,1]
	v_pk_add_f32 v[42:43], v[44:45], v[42:43]
	s_mov_b32 s44, s15
	v_pk_add_f32 v[122:123], v[10:11], v[12:13]
	v_pk_mul_f32 v[44:45], v[124:125], s[14:15] op_sel_hi:[1,0]
	s_mov_b32 s34, s17
	v_pk_fma_f32 v[78:79], v[122:123], s[44:45], v[44:45] op_sel:[0,0,1] op_sel_hi:[1,0,0]
	v_pk_fma_f32 v[80:81], v[122:123], s[44:45], v[44:45] op_sel:[0,0,1] op_sel_hi:[1,0,0] neg_lo:[0,0,1] neg_hi:[0,0,1]
	v_mov_b32_e32 v44, v78
	v_mov_b32_e32 v45, v81
	v_pk_add_f32 v[38:39], v[44:45], v[38:39]
	v_pk_mul_f32 v[44:45], v[124:125], s[16:17] op_sel_hi:[1,0]
	s_mov_b32 s18, 0x3e3c28d5
	v_pk_fma_f32 v[66:67], v[122:123], s[34:35], v[44:45] op_sel:[0,0,1] op_sel_hi:[1,0,0]
	v_pk_fma_f32 v[68:69], v[122:123], s[34:35], v[44:45] op_sel:[0,0,1] op_sel_hi:[1,0,0] neg_lo:[0,0,1] neg_hi:[0,0,1]
	v_mov_b32_e32 v44, v66
	v_mov_b32_e32 v45, v69
	v_pk_add_f32 v[40:41], v[44:45], v[40:41]
	s_mov_b32 s20, 0xbf7ba420
	v_pk_mul_f32 v[44:45], v[124:125], s[18:19] op_sel_hi:[1,0]
	v_pk_add_f32 v[140:141], v[14:15], v[8:9] neg_lo:[0,1] neg_hi:[0,1]
	v_pk_fma_f32 v[120:121], v[122:123], s[20:21], v[44:45] op_sel:[0,0,1] op_sel_hi:[1,0,0]
	v_pk_fma_f32 v[64:65], v[122:123], s[20:21], v[44:45] op_sel:[0,0,1] op_sel_hi:[1,0,0] neg_lo:[0,0,1] neg_hi:[0,0,1]
	v_mov_b32_e32 v44, v120
	v_mov_b32_e32 v45, v65
	v_pk_add_f32 v[42:43], v[44:45], v[42:43]
	s_mov_b32 s36, s11
	v_pk_add_f32 v[138:139], v[8:9], v[14:15]
	v_pk_mul_f32 v[44:45], v[140:141], s[10:11] op_sel:[1,0] op_sel_hi:[0,0]
	v_pk_fma_f32 v[96:97], v[138:139], s[36:37], v[44:45] op_sel_hi:[1,0,1]
	v_pk_fma_f32 v[100:101], v[138:139], s[36:37], v[44:45] op_sel_hi:[1,0,1] neg_lo:[0,0,1] neg_hi:[0,0,1]
	v_mov_b32_e32 v44, v96
	v_mov_b32_e32 v45, v101
	s_mov_b32 s18, 0xbe3c28d5
	v_pk_add_f32 v[38:39], v[44:45], v[38:39]
	v_pk_mul_f32 v[44:45], v[140:141], s[18:19] op_sel:[1,0] op_sel_hi:[0,0]
	v_pk_fma_f32 v[84:85], v[138:139], s[20:21], v[44:45] op_sel_hi:[1,0,1]
	v_pk_fma_f32 v[86:87], v[138:139], s[20:21], v[44:45] op_sel_hi:[1,0,1] neg_lo:[0,0,1] neg_hi:[0,0,1]
	v_mov_b32_e32 v44, v84
	v_mov_b32_e32 v45, v87
	s_mov_b32 s22, 0x3f763a35
	v_pk_add_f32 v[40:41], v[44:45], v[40:41]
	s_mov_b32 s26, 0xbe8c1d8e
	v_pk_mul_f32 v[44:45], v[140:141], s[22:23] op_sel:[1,0] op_sel_hi:[0,0]
	v_pk_fma_f32 v[70:71], v[138:139], s[26:27], v[44:45] op_sel_hi:[1,0,1]
	v_pk_fma_f32 v[72:73], v[138:139], s[26:27], v[44:45] op_sel_hi:[1,0,1] neg_lo:[0,0,1] neg_hi:[0,0,1]
	v_mov_b32_e32 v44, v70
	v_mov_b32_e32 v45, v73
	s_mov_b32 s28, 0xbf763a35
	v_pk_add_f32 v[146:147], v[4:5], v[2:3] neg_lo:[0,1] neg_hi:[0,1]
	v_pk_add_f32 v[42:43], v[44:45], v[42:43]
	v_pk_add_f32 v[144:145], v[2:3], v[4:5]
	v_pk_mul_f32 v[44:45], v[146:147], s[28:29] op_sel:[1,0] op_sel_hi:[0,0]
	v_pk_fma_f32 v[34:35], v[144:145], s[26:27], v[44:45] op_sel_hi:[1,0,1]
	v_pk_fma_f32 v[118:119], v[144:145], s[26:27], v[44:45] op_sel_hi:[1,0,1] neg_lo:[0,0,1] neg_hi:[0,0,1]
	v_mov_b32_e32 v44, v34
	v_mov_b32_e32 v45, v119
	s_mov_b32 s42, 0x3f06c442
	v_pk_add_f32 v[38:39], v[44:45], v[38:39]
	s_mov_b32 s38, 0xbf59a7d5
	v_pk_mul_f32 v[44:45], v[146:147], s[42:43] op_sel:[1,0] op_sel_hi:[0,0]
	v_pk_fma_f32 v[112:113], v[144:145], s[38:39], v[44:45] op_sel_hi:[1,0,1]
	v_pk_fma_f32 v[114:115], v[144:145], s[38:39], v[44:45] op_sel_hi:[1,0,1] neg_lo:[0,0,1] neg_hi:[0,0,1]
	v_mov_b32_e32 v44, v112
	v_mov_b32_e32 v45, v115
	s_mov_b32 s30, 0x3f2c7751
	v_pk_add_f32 v[40:41], v[44:45], v[40:41]
	v_pk_mul_f32 v[44:45], v[146:147], s[30:31] op_sel:[1,0] op_sel_hi:[0,0]
	v_pk_fma_f32 v[92:93], v[144:145], s[52:53], v[44:45] op_sel_hi:[1,0,1]
	v_pk_fma_f32 v[94:95], v[144:145], s[52:53], v[44:45] op_sel_hi:[1,0,1] neg_lo:[0,0,1] neg_hi:[0,0,1]
	v_mov_b32_e32 v44, v92
	v_mov_b32_e32 v45, v95
	s_mov_b32 s27, s28
	v_pk_add_f32 v[42:43], v[44:45], v[42:43]
	s_mov_b32 s29, s26
	v_pk_mul_f32 v[44:45], v[32:33], s[26:27]
	s_mov_b32 s39, s42
	v_pk_fma_f32 v[46:47], v[54:55], s[28:29], v[44:45] neg_lo:[1,0,0] neg_hi:[1,0,0]
	v_pk_fma_f32 v[48:49], v[54:55], s[28:29], v[44:45]
	s_mov_b32 s43, s38
	v_pk_mul_f32 v[74:75], v[108:109], s[38:39]
	v_mov_b32_e32 v47, v49
	v_pk_fma_f32 v[88:89], v[98:99], s[42:43], v[74:75] op_sel:[1,0,0] neg_lo:[1,0,0] neg_hi:[1,0,0]
	v_pk_fma_f32 v[126:127], v[58:59], s[42:43], v[74:75]
	v_pk_add_f32 v[46:47], v[46:47], v[36:37]
	v_mov_b32_e32 v89, v127
	v_pk_fma_f32 v[44:45], v[54:55], s[28:29], v[44:45] neg_lo:[0,0,1] neg_hi:[0,0,1]
	v_pk_add_f32 v[46:47], v[88:89], v[46:47]
	v_pk_mul_f32 v[88:89], v[124:125], s[30:31] op_sel_hi:[1,0]
	v_mov_b32_e32 v49, v45
	v_pk_fma_f32 v[44:45], v[58:59], s[42:43], v[74:75] neg_lo:[0,0,1] neg_hi:[0,0,1]
	v_pk_fma_f32 v[128:129], v[122:123], s[52:53], v[88:89] op_sel:[0,0,1] op_sel_hi:[1,0,0] neg_lo:[0,0,1] neg_hi:[0,0,1]
	v_pk_fma_f32 v[88:89], v[122:123], s[52:53], v[88:89] op_sel:[0,0,1] op_sel_hi:[1,0,0]
	v_mov_b32_e32 v127, v45
	v_pk_add_f32 v[44:45], v[48:49], v[36:37]
	v_pk_mul_f32 v[48:49], v[140:141], s[14:15] op_sel:[1,0] op_sel_hi:[0,0]
	v_mov_b32_e32 v131, v89
	v_mov_b32_e32 v89, v129
	v_pk_add_f32 v[44:45], v[126:127], v[44:45]
	v_pk_fma_f32 v[74:75], v[138:139], s[44:45], v[48:49] op_sel_hi:[1,0,1] neg_lo:[0,0,1] neg_hi:[0,0,1]
	v_pk_fma_f32 v[48:49], v[138:139], s[44:45], v[48:49] op_sel_hi:[1,0,1]
	v_mov_b32_e32 v130, v128
	v_pk_add_f32 v[44:45], v[88:89], v[44:45]
	v_mov_b32_e32 v89, v49
	v_mov_b32_e32 v49, v75
	v_pk_add_f32 v[46:47], v[130:131], v[46:47]
	v_mov_b32_e32 v88, v74
	v_pk_add_f32 v[48:49], v[48:49], v[44:45]
	v_pk_mul_f32 v[44:45], v[146:147], s[18:19] op_sel:[1,0] op_sel_hi:[0,0]
	v_pk_add_f32 v[156:157], v[6:7], v[0:1] neg_lo:[0,1] neg_hi:[0,1]
	v_pk_add_f32 v[142:143], v[6:7], v[0:1]
	v_pk_add_f32 v[46:47], v[88:89], v[46:47]
	v_pk_fma_f32 v[74:75], v[144:145], s[20:21], v[44:45] op_sel_hi:[1,0,1] neg_lo:[0,0,1] neg_hi:[0,0,1]
	v_pk_fma_f32 v[88:89], v[144:145], s[20:21], v[44:45] op_sel_hi:[1,0,1]
	v_mov_b32_e32 v158, v142
	v_mov_b32_e32 v159, v156
	;; [unrolled: 1-line block ×6, first 2 shown]
	v_pk_mul_f32 v[136:137], v[158:159], s[40:41]
	v_pk_add_f32 v[44:45], v[44:45], v[46:47]
	v_pk_add_f32 v[46:47], v[88:89], v[48:49]
	v_pk_fma_f32 v[134:135], v[142:143], s[16:17], v[136:137]
	v_pk_fma_f32 v[48:49], v[142:143], s[16:17], v[136:137] neg_lo:[0,0,1] neg_hi:[0,0,1]
	s_mov_b32 s60, s26
	s_mov_b32 s61, s22
	v_mov_b32_e32 v48, v134
	s_mov_b32 s23, s26
	v_pk_mul_f32 v[132:133], v[158:159], s[60:61]
	v_pk_add_f32 v[38:39], v[48:49], v[38:39]
	v_pk_fma_f32 v[130:131], v[142:143], s[22:23], v[132:133]
	v_pk_fma_f32 v[48:49], v[142:143], s[22:23], v[132:133] neg_lo:[0,0,1] neg_hi:[0,0,1]
	v_pk_mul_f32 v[128:129], v[158:159], s[46:47]
	v_mov_b32_e32 v48, v130
	v_pk_add_f32 v[40:41], v[48:49], v[40:41]
	v_pk_fma_f32 v[126:127], v[142:143], s[0:1], v[128:129]
	v_pk_fma_f32 v[48:49], v[142:143], s[0:1], v[128:129] neg_lo:[0,0,1] neg_hi:[0,0,1]
	s_mov_b32 s21, s18
	v_mov_b32_e32 v48, v126
	v_pk_add_f32 v[42:43], v[48:49], v[42:43]
	v_pk_mul_f32 v[48:49], v[32:33], s[58:59]
	s_mov_b32 s19, s20
	v_pk_fma_f32 v[74:75], v[54:55], s[10:11], v[48:49] neg_lo:[1,0,0] neg_hi:[1,0,0]
	v_pk_fma_f32 v[88:89], v[54:55], s[10:11], v[48:49]
	v_pk_mul_f32 v[148:149], v[108:109], s[20:21]
	v_pk_fma_f32 v[48:49], v[54:55], s[10:11], v[48:49] neg_lo:[0,0,1] neg_hi:[0,0,1]
	v_mov_b32_e32 v75, v89
	v_pk_fma_f32 v[150:151], v[98:99], s[18:19], v[148:149] op_sel:[1,0,0] neg_lo:[1,0,0] neg_hi:[1,0,0]
	v_pk_fma_f32 v[152:153], v[58:59], s[18:19], v[148:149]
	v_mov_b32_e32 v89, v49
	v_pk_fma_f32 v[48:49], v[58:59], s[18:19], v[148:149] neg_lo:[0,0,1] neg_hi:[0,0,1]
	v_mov_b32_e32 v151, v153
	v_mov_b32_e32 v153, v49
	v_pk_add_f32 v[48:49], v[88:89], v[36:37]
	v_pk_mul_f32 v[88:89], v[124:125], s[22:23] op_sel_hi:[1,0]
	v_pk_add_f32 v[74:75], v[74:75], v[36:37]
	v_pk_fma_f32 v[148:149], v[122:123], s[26:27], v[88:89] op_sel:[0,0,1] op_sel_hi:[1,0,0] neg_lo:[0,0,1] neg_hi:[0,0,1]
	v_pk_fma_f32 v[88:89], v[122:123], s[26:27], v[88:89] op_sel:[0,0,1] op_sel_hi:[1,0,0]
	v_pk_add_f32 v[74:75], v[150:151], v[74:75]
	v_pk_add_f32 v[48:49], v[152:153], v[48:49]
	v_mov_b32_e32 v151, v89
	v_mov_b32_e32 v89, v149
	s_mov_b32 s42, 0x3eb8f4ab
	v_pk_add_f32 v[48:49], v[88:89], v[48:49]
	s_mov_b32 s56, s1
	v_pk_mul_f32 v[88:89], v[140:141], s[42:43] op_sel:[1,0] op_sel_hi:[0,0]
	v_mov_b32_e32 v150, v148
	v_pk_fma_f32 v[148:149], v[138:139], s[56:57], v[88:89] op_sel_hi:[1,0,1] neg_lo:[0,0,1] neg_hi:[0,0,1]
	v_pk_fma_f32 v[88:89], v[138:139], s[56:57], v[88:89] op_sel_hi:[1,0,1]
	v_pk_add_f32 v[74:75], v[150:151], v[74:75]
	v_mov_b32_e32 v151, v89
	v_mov_b32_e32 v89, v149
	v_pk_add_f32 v[48:49], v[88:89], v[48:49]
	v_pk_mul_f32 v[88:89], v[146:147], s[14:15] op_sel:[1,0] op_sel_hi:[0,0]
	v_mov_b32_e32 v150, v148
	v_pk_fma_f32 v[148:149], v[144:145], s[44:45], v[88:89] op_sel_hi:[1,0,1]
	v_pk_fma_f32 v[88:89], v[144:145], s[44:45], v[88:89] op_sel_hi:[1,0,1] neg_lo:[0,0,1] neg_hi:[0,0,1]
	s_mov_b32 s44, 0xbf06c442
	v_pk_add_f32 v[74:75], v[150:151], v[74:75]
	v_mov_b32_e32 v151, v89
	v_mov_b32_e32 v89, v149
	s_mov_b32 s39, s44
	v_mov_b32_e32 v150, v148
	v_pk_add_f32 v[74:75], v[88:89], v[74:75]
	s_mov_b32 s45, s38
	v_pk_mul_f32 v[88:89], v[158:159], s[38:39]
	s_mov_b32 s50, 0x3f7ee86f
	v_pk_add_f32 v[48:49], v[150:151], v[48:49]
	v_pk_fma_f32 v[148:149], v[156:157], s[44:45], v[88:89] op_sel:[1,0,0] neg_lo:[1,0,0] neg_hi:[1,0,0]
	v_pk_fma_f32 v[150:151], v[142:143], s[44:45], v[88:89]
	v_pk_fma_f32 v[88:89], v[142:143], s[44:45], v[88:89] neg_lo:[0,0,1] neg_hi:[0,0,1]
	s_mov_b32 s54, s11
	s_mov_b32 s55, s50
	v_mov_b32_e32 v149, v151
	v_mov_b32_e32 v151, v89
	s_mov_b32 s51, s11
	v_pk_mul_f32 v[88:89], v[158:159], s[54:55]
	v_pk_add_f32 v[172:173], v[20:21], v[26:27] neg_lo:[0,1] neg_hi:[0,1]
	v_pk_add_f32 v[164:165], v[20:21], v[26:27]
	v_pk_add_f32 v[74:75], v[148:149], v[74:75]
	v_pk_fma_f32 v[192:193], v[142:143], s[50:51], v[88:89]
	v_pk_fma_f32 v[148:149], v[142:143], s[50:51], v[88:89] neg_lo:[0,0,1] neg_hi:[0,0,1]
	v_mov_b32_e32 v174, v164
	v_mov_b32_e32 v175, v172
	v_mov_b32_e32 v148, v192
	v_mov_b32_e32 v164, v173
	v_pk_mul_f32 v[162:163], v[174:175], s[38:39]
	s_mov_b32 s48, 0x3f65296c
	v_pk_add_f32 v[46:47], v[148:149], v[46:47]
	v_pk_fma_f32 v[160:161], v[164:165], s[44:45], v[162:163]
	v_pk_fma_f32 v[148:149], v[164:165], s[44:45], v[162:163] neg_lo:[0,0,1] neg_hi:[0,0,1]
	s_mov_b32 s62, s15
	s_mov_b32 s63, s48
	v_mov_b32_e32 v148, v160
	s_mov_b32 s49, s15
	v_pk_mul_f32 v[154:155], v[174:175], s[62:63]
	v_pk_add_f32 v[166:167], v[148:149], v[38:39]
	v_pk_fma_f32 v[152:153], v[164:165], s[48:49], v[154:155]
	v_pk_fma_f32 v[38:39], v[164:165], s[48:49], v[154:155] neg_lo:[0,0,1] neg_hi:[0,0,1]
	v_pk_add_f32 v[48:49], v[150:151], v[48:49]
	v_mov_b32_e32 v38, v152
	v_pk_mul_f32 v[150:151], v[174:175], s[58:59]
	s_mov_b32 s58, 0x3f4c4adb
	v_pk_add_f32 v[38:39], v[38:39], v[40:41]
	v_pk_fma_f32 v[148:149], v[164:165], s[10:11], v[150:151]
	v_pk_fma_f32 v[40:41], v[164:165], s[10:11], v[150:151] neg_lo:[0,0,1] neg_hi:[0,0,1]
	s_mov_b32 s64, s17
	s_mov_b32 s65, s58
	v_mov_b32_e32 v40, v148
	s_mov_b32 s59, s17
	v_pk_mul_f32 v[194:195], v[174:175], s[64:65]
	v_pk_add_f32 v[40:41], v[40:41], v[42:43]
	v_pk_fma_f32 v[196:197], v[164:165], s[58:59], v[194:195]
	v_pk_fma_f32 v[42:43], v[164:165], s[58:59], v[194:195] neg_lo:[0,0,1] neg_hi:[0,0,1]
	s_mov_b32 s43, s1
	v_mov_b32_e32 v42, v196
	v_pk_add_f32 v[42:43], v[42:43], v[48:49]
	v_pk_mul_f32 v[48:49], v[174:175], s[46:47]
	s_mov_b32 s47, s42
	v_pk_fma_f32 v[198:199], v[164:165], s[0:1], v[48:49]
	v_pk_fma_f32 v[168:169], v[164:165], s[0:1], v[48:49] neg_lo:[0,0,1] neg_hi:[0,0,1]
	v_pk_mul_f32 v[178:179], v[108:109], s[46:47]
	v_mov_b32_e32 v168, v198
	v_pk_add_f32 v[46:47], v[168:169], v[46:47]
	v_pk_mul_f32 v[168:169], v[32:33], s[20:21]
	v_pk_fma_f32 v[180:181], v[98:99], s[42:43], v[178:179] op_sel:[1,0,0] neg_lo:[1,0,0] neg_hi:[1,0,0]
	v_pk_fma_f32 v[170:171], v[54:55], s[18:19], v[168:169] neg_lo:[1,0,0] neg_hi:[1,0,0]
	v_pk_fma_f32 v[176:177], v[54:55], s[18:19], v[168:169]
	v_pk_fma_f32 v[182:183], v[58:59], s[42:43], v[178:179]
	v_mov_b32_e32 v171, v177
	v_mov_b32_e32 v181, v183
	v_pk_add_f32 v[170:171], v[170:171], v[36:37]
	v_pk_fma_f32 v[168:169], v[54:55], s[18:19], v[168:169] neg_lo:[0,0,1] neg_hi:[0,0,1]
	v_pk_add_f32 v[170:171], v[180:181], v[170:171]
	v_pk_mul_f32 v[180:181], v[124:125], s[44:45] op_sel_hi:[1,0]
	v_mov_b32_e32 v177, v169
	v_pk_fma_f32 v[184:185], v[122:123], s[38:39], v[180:181] op_sel:[0,0,1] op_sel_hi:[1,0,0] neg_lo:[0,0,1] neg_hi:[0,0,1]
	v_pk_fma_f32 v[180:181], v[122:123], s[38:39], v[180:181] op_sel:[0,0,1] op_sel_hi:[1,0,0]
	v_mov_b32_e32 v186, v184
	v_mov_b32_e32 v187, v181
	v_pk_add_f32 v[170:171], v[186:187], v[170:171]
	v_pk_mul_f32 v[186:187], v[140:141], s[30:31] op_sel:[1,0] op_sel_hi:[0,0]
	v_pk_fma_f32 v[188:189], v[138:139], s[52:53], v[186:187] op_sel_hi:[1,0,1] neg_lo:[0,0,1] neg_hi:[0,0,1]
	v_pk_fma_f32 v[186:187], v[138:139], s[52:53], v[186:187] op_sel_hi:[1,0,1]
	v_mov_b32_e32 v200, v188
	v_mov_b32_e32 v201, v187
	v_pk_add_f32 v[170:171], v[200:201], v[170:171]
	v_pk_mul_f32 v[200:201], v[146:147], s[16:17] op_sel:[1,0] op_sel_hi:[0,0]
	v_pk_fma_f32 v[202:203], v[144:145], s[34:35], v[200:201] op_sel_hi:[1,0,1] neg_lo:[0,0,1] neg_hi:[0,0,1]
	v_pk_fma_f32 v[200:201], v[144:145], s[34:35], v[200:201] op_sel_hi:[1,0,1]
	v_mov_b32_e32 v204, v202
	v_mov_b32_e32 v205, v201
	v_pk_add_f32 v[170:171], v[204:205], v[170:171]
	v_pk_mul_f32 v[204:205], v[158:159], s[62:63]
	v_pk_fma_f32 v[168:169], v[58:59], s[42:43], v[178:179] neg_lo:[0,0,1] neg_hi:[0,0,1]
	v_pk_fma_f32 v[206:207], v[156:157], s[48:49], v[204:205] op_sel:[1,0,0] neg_lo:[1,0,0] neg_hi:[1,0,0]
	v_pk_fma_f32 v[208:209], v[142:143], s[48:49], v[204:205]
	v_mov_b32_e32 v183, v169
	v_pk_fma_f32 v[168:169], v[142:143], s[48:49], v[204:205] neg_lo:[0,0,1] neg_hi:[0,0,1]
	v_mov_b32_e32 v207, v209
	v_mov_b32_e32 v209, v169
	v_pk_add_f32 v[168:169], v[176:177], v[36:37]
	v_mov_b32_e32 v181, v185
	v_pk_add_f32 v[168:169], v[182:183], v[168:169]
	v_pk_mul_f32 v[176:177], v[174:175], s[26:27]
	v_mov_b32_e32 v187, v189
	v_pk_add_f32 v[168:169], v[180:181], v[168:169]
	v_pk_fma_f32 v[178:179], v[172:173], s[28:29], v[176:177] op_sel:[1,0,0] neg_lo:[1,0,0] neg_hi:[1,0,0]
	v_pk_fma_f32 v[180:181], v[164:165], s[28:29], v[176:177]
	v_pk_add_f32 v[170:171], v[206:207], v[170:171]
	v_mov_b32_e32 v201, v203
	v_pk_add_f32 v[168:169], v[186:187], v[168:169]
	v_mov_b32_e32 v179, v181
	v_pk_add_f32 v[168:169], v[200:201], v[168:169]
	v_pk_add_f32 v[182:183], v[178:179], v[170:171]
	v_pk_fma_f32 v[170:171], v[164:165], s[28:29], v[176:177] neg_lo:[0,0,1] neg_hi:[0,0,1]
	v_pk_add_f32 v[168:169], v[208:209], v[168:169]
	v_mov_b32_e32 v181, v171
	v_pk_add_f32 v[186:187], v[22:23], v[24:25]
	v_pk_add_f32 v[188:189], v[22:23], v[24:25] neg_lo:[0,1] neg_hi:[0,1]
	v_pk_add_f32 v[184:185], v[180:181], v[168:169]
	v_mov_b32_e32 v187, v188
	v_pk_add_f32 v[180:181], v[22:23], v[24:25]
	v_pk_mul_f32 v[178:179], v[186:187], s[46:47]
	v_mov_b32_e32 v180, v189
	v_pk_fma_f32 v[176:177], v[180:181], s[42:43], v[178:179]
	v_pk_fma_f32 v[168:169], v[180:181], s[42:43], v[178:179] neg_lo:[0,0,1] neg_hi:[0,0,1]
	v_pk_mul_f32 v[170:171], v[186:187], s[38:39]
	v_mov_b32_e32 v168, v176
	v_pk_add_f32 v[38:39], v[168:169], v[38:39]
	v_pk_fma_f32 v[168:169], v[180:181], s[44:45], v[170:171]
	v_pk_fma_f32 v[200:201], v[180:181], s[44:45], v[170:171] neg_lo:[0,0,1] neg_hi:[0,0,1]
	v_pk_fma_f32 v[88:89], v[156:157], s[50:51], v[88:89] op_sel:[1,0,0] neg_lo:[1,0,0] neg_hi:[1,0,0]
	v_mov_b32_e32 v200, v168
	s_mov_b32 s46, s7
	s_mov_b32 s47, s30
	v_mov_b32_e32 v89, v193
	v_pk_fma_f32 v[48:49], v[172:173], s[0:1], v[48:49] op_sel:[1,0,0] neg_lo:[1,0,0] neg_hi:[1,0,0]
	v_pk_add_f32 v[40:41], v[200:201], v[40:41]
	s_mov_b32 s31, s7
	v_pk_mul_f32 v[200:201], v[186:187], s[46:47]
	v_pk_add_f32 v[44:45], v[88:89], v[44:45]
	v_pk_fma_f32 v[88:89], v[172:173], s[58:59], v[194:195] op_sel:[1,0,0] neg_lo:[1,0,0] neg_hi:[1,0,0]
	v_mov_b32_e32 v49, v199
	v_pk_fma_f32 v[202:203], v[180:181], s[30:31], v[200:201]
	v_mov_b32_e32 v89, v197
	v_pk_add_f32 v[48:49], v[48:49], v[44:45]
	v_pk_fma_f32 v[44:45], v[188:189], s[30:31], v[200:201] op_sel:[1,0,0] neg_lo:[1,0,0] neg_hi:[1,0,0]
	v_pk_add_f32 v[74:75], v[88:89], v[74:75]
	v_mov_b32_e32 v45, v203
	v_pk_add_f32 v[44:45], v[44:45], v[74:75]
	v_pk_mul_f32 v[74:75], v[186:187], s[40:41]
	v_pk_mul_f32 v[194:195], v[108:109], s[60:61]
	v_pk_fma_f32 v[88:89], v[188:189], s[16:17], v[74:75] op_sel:[1,0,0] neg_lo:[1,0,0] neg_hi:[1,0,0]
	v_pk_fma_f32 v[192:193], v[180:181], s[16:17], v[74:75]
	v_pk_fma_f32 v[74:75], v[180:181], s[16:17], v[74:75] neg_lo:[0,0,1] neg_hi:[0,0,1]
	v_mov_b32_e32 v89, v193
	v_mov_b32_e32 v193, v75
	v_pk_mul_f32 v[74:75], v[32:33], s[40:41]
	v_pk_add_f32 v[48:49], v[88:89], v[48:49]
	v_pk_add_f32 v[46:47], v[192:193], v[46:47]
	v_pk_fma_f32 v[88:89], v[54:55], s[16:17], v[74:75] neg_lo:[1,0,0] neg_hi:[1,0,0]
	v_pk_fma_f32 v[192:193], v[54:55], s[16:17], v[74:75]
	v_pk_fma_f32 v[196:197], v[98:99], s[22:23], v[194:195] op_sel:[1,0,0] neg_lo:[1,0,0] neg_hi:[1,0,0]
	v_mov_b32_e32 v89, v193
	v_pk_fma_f32 v[198:199], v[58:59], s[22:23], v[194:195]
	v_pk_add_f32 v[88:89], v[88:89], v[36:37]
	v_mov_b32_e32 v197, v199
	v_pk_add_f32 v[88:89], v[196:197], v[88:89]
	v_pk_mul_f32 v[196:197], v[124:125], s[0:1] op_sel_hi:[1,0]
	v_pk_fma_f32 v[204:205], v[180:181], s[30:31], v[200:201] neg_lo:[0,0,1] neg_hi:[0,0,1]
	v_pk_fma_f32 v[200:201], v[122:123], s[56:57], v[196:197] op_sel:[0,0,1] op_sel_hi:[1,0,0] neg_lo:[0,0,1] neg_hi:[0,0,1]
	v_pk_fma_f32 v[196:197], v[122:123], s[56:57], v[196:197] op_sel:[0,0,1] op_sel_hi:[1,0,0]
	v_pk_fma_f32 v[74:75], v[54:55], s[16:17], v[74:75] neg_lo:[0,0,1] neg_hi:[0,0,1]
	v_mov_b32_e32 v204, v202
	v_mov_b32_e32 v202, v200
	;; [unrolled: 1-line block ×4, first 2 shown]
	v_pk_fma_f32 v[74:75], v[58:59], s[22:23], v[194:195] neg_lo:[0,0,1] neg_hi:[0,0,1]
	v_pk_add_f32 v[88:89], v[202:203], v[88:89]
	v_pk_mul_f32 v[202:203], v[140:141], s[44:45] op_sel:[1,0] op_sel_hi:[0,0]
	v_mov_b32_e32 v199, v75
	v_pk_add_f32 v[74:75], v[192:193], v[36:37]
	v_pk_add_f32 v[42:43], v[204:205], v[42:43]
	v_pk_fma_f32 v[204:205], v[138:139], s[38:39], v[202:203] op_sel_hi:[1,0,1] neg_lo:[0,0,1] neg_hi:[0,0,1]
	v_pk_fma_f32 v[202:203], v[138:139], s[38:39], v[202:203] op_sel_hi:[1,0,1]
	v_mov_b32_e32 v197, v201
	v_pk_add_f32 v[74:75], v[198:199], v[74:75]
	v_pk_mul_f32 v[192:193], v[146:147], s[50:51] op_sel:[1,0] op_sel_hi:[0,0]
	v_mov_b32_e32 v207, v203
	v_mov_b32_e32 v203, v205
	v_pk_add_f32 v[74:75], v[196:197], v[74:75]
	v_pk_fma_f32 v[194:195], v[144:145], s[36:37], v[192:193] op_sel_hi:[1,0,1] neg_lo:[0,0,1] neg_hi:[0,0,1]
	v_pk_fma_f32 v[192:193], v[144:145], s[36:37], v[192:193] op_sel_hi:[1,0,1]
	v_mov_b32_e32 v206, v204
	v_pk_add_f32 v[74:75], v[202:203], v[74:75]
	v_mov_b32_e32 v197, v193
	v_mov_b32_e32 v193, v195
	v_pk_add_f32 v[88:89], v[206:207], v[88:89]
	v_mov_b32_e32 v196, v194
	v_pk_add_f32 v[74:75], v[192:193], v[74:75]
	v_pk_mul_f32 v[192:193], v[158:159], s[24:25]
	v_pk_add_f32 v[88:89], v[196:197], v[88:89]
	v_pk_fma_f32 v[194:195], v[156:157], s[6:7], v[192:193] op_sel:[1,0,0] neg_lo:[1,0,0] neg_hi:[1,0,0]
	v_pk_fma_f32 v[196:197], v[142:143], s[6:7], v[192:193]
	v_pk_fma_f32 v[192:193], v[142:143], s[6:7], v[192:193] neg_lo:[0,0,1] neg_hi:[0,0,1]
	v_mov_b32_e32 v195, v197
	v_mov_b32_e32 v197, v193
	v_pk_mul_f32 v[192:193], v[164:165], s[18:19]
	v_pk_add_f32 v[88:89], v[194:195], v[88:89]
	v_pk_add_f32 v[74:75], v[196:197], v[74:75]
	v_pk_fma_f32 v[194:195], v[174:175], s[20:21], v[192:193]
	v_pk_fma_f32 v[196:197], v[174:175], s[20:21], v[192:193] neg_lo:[1,0,0] neg_hi:[1,0,0]
	v_pk_fma_f32 v[192:193], v[174:175], s[20:21], v[192:193] neg_lo:[0,0,1] neg_hi:[0,0,1]
	v_mov_b32_e32 v196, v194
	v_mov_b32_e32 v193, v195
	v_pk_add_f32 v[88:89], v[192:193], v[88:89]
	v_pk_mul_f32 v[192:193], v[186:187], s[62:63]
	v_pk_add_f32 v[74:75], v[196:197], v[74:75]
	v_pk_fma_f32 v[194:195], v[188:189], s[48:49], v[192:193] op_sel:[1,0,0] neg_lo:[1,0,0] neg_hi:[1,0,0]
	v_pk_fma_f32 v[196:197], v[180:181], s[48:49], v[192:193]
	v_pk_fma_f32 v[192:193], v[180:181], s[48:49], v[192:193] neg_lo:[0,0,1] neg_hi:[0,0,1]
	v_pk_mul_f32 v[124:125], v[124:125], s[10:11] op_sel_hi:[1,0]
	v_mov_b32_e32 v195, v197
	v_mov_b32_e32 v197, v193
	v_pk_fma_f32 v[192:193], v[122:123], s[36:37], v[124:125] op_sel:[0,0,1] op_sel_hi:[1,0,0] neg_lo:[0,0,1] neg_hi:[0,0,1]
	v_pk_fma_f32 v[122:123], v[122:123], s[36:37], v[124:125] op_sel:[0,0,1] op_sel_hi:[1,0,0]
	v_pk_mul_f32 v[124:125], v[140:141], s[58:59] op_sel:[1,0] op_sel_hi:[0,0]
	v_pk_fma_f32 v[140:141], v[138:139], s[34:35], v[124:125] op_sel_hi:[1,0,1] neg_lo:[0,0,1] neg_hi:[0,0,1]
	v_pk_fma_f32 v[124:125], v[138:139], s[34:35], v[124:125] op_sel_hi:[1,0,1]
	v_pk_mul_f32 v[138:139], v[146:147], s[0:1] op_sel:[1,0] op_sel_hi:[0,0]
	v_pk_mul_f32 v[32:33], v[32:33], s[38:39]
	v_pk_add_f32 v[88:89], v[194:195], v[88:89]
	v_pk_fma_f32 v[146:147], v[144:145], s[56:57], v[138:139] op_sel_hi:[1,0,1] neg_lo:[0,0,1] neg_hi:[0,0,1]
	v_pk_fma_f32 v[138:139], v[144:145], s[56:57], v[138:139] op_sel_hi:[1,0,1]
	v_pk_fma_f32 v[144:145], v[54:55], s[44:45], v[32:33] neg_lo:[1,0,0] neg_hi:[1,0,0]
	v_pk_fma_f32 v[194:195], v[54:55], s[44:45], v[32:33]
	v_pk_mul_f32 v[108:109], v[108:109], s[62:63]
	v_pk_fma_f32 v[32:33], v[54:55], s[44:45], v[32:33] neg_lo:[0,0,1] neg_hi:[0,0,1]
	v_pk_add_f32 v[74:75], v[196:197], v[74:75]
	v_mov_b32_e32 v145, v195
	v_pk_fma_f32 v[98:99], v[98:99], s[48:49], v[108:109] op_sel:[1,0,0] neg_lo:[1,0,0] neg_hi:[1,0,0]
	v_pk_fma_f32 v[196:197], v[58:59], s[48:49], v[108:109]
	v_mov_b32_e32 v195, v33
	v_pk_fma_f32 v[32:33], v[58:59], s[48:49], v[108:109] neg_lo:[0,0,1] neg_hi:[0,0,1]
	v_mov_b32_e32 v99, v197
	v_pk_add_f32 v[144:145], v[144:145], v[36:37]
	v_mov_b32_e32 v197, v33
	v_pk_add_f32 v[32:33], v[194:195], v[36:37]
	v_pk_add_f32 v[98:99], v[98:99], v[144:145]
	v_mov_b32_e32 v144, v192
	v_mov_b32_e32 v145, v123
	;; [unrolled: 1-line block ×3, first 2 shown]
	v_pk_add_f32 v[32:33], v[196:197], v[32:33]
	v_pk_add_f32 v[98:99], v[144:145], v[98:99]
	v_mov_b32_e32 v144, v140
	v_mov_b32_e32 v145, v125
	;; [unrolled: 1-line block ×3, first 2 shown]
	v_pk_add_f32 v[32:33], v[122:123], v[32:33]
	v_pk_mul_f32 v[108:109], v[158:159], s[20:21]
	v_pk_add_f32 v[98:99], v[144:145], v[98:99]
	v_mov_b32_e32 v144, v146
	v_mov_b32_e32 v145, v139
	;; [unrolled: 1-line block ×3, first 2 shown]
	v_pk_add_f32 v[32:33], v[124:125], v[32:33]
	v_pk_fma_f32 v[122:123], v[156:157], s[18:19], v[108:109] op_sel:[1,0,0] neg_lo:[1,0,0] neg_hi:[1,0,0]
	v_pk_fma_f32 v[124:125], v[142:143], s[18:19], v[108:109]
	v_pk_fma_f32 v[108:109], v[142:143], s[18:19], v[108:109] neg_lo:[0,0,1] neg_hi:[0,0,1]
	v_pk_add_f32 v[98:99], v[144:145], v[98:99]
	v_pk_add_f32 v[32:33], v[138:139], v[32:33]
	v_mov_b32_e32 v123, v125
	v_mov_b32_e32 v125, v109
	v_pk_mul_f32 v[108:109], v[174:175], s[46:47]
	v_pk_add_f32 v[98:99], v[122:123], v[98:99]
	v_pk_add_f32 v[32:33], v[124:125], v[32:33]
	v_pk_fma_f32 v[122:123], v[172:173], s[30:31], v[108:109] op_sel:[1,0,0] neg_lo:[1,0,0] neg_hi:[1,0,0]
	v_pk_fma_f32 v[124:125], v[164:165], s[30:31], v[108:109]
	v_pk_fma_f32 v[108:109], v[164:165], s[30:31], v[108:109] neg_lo:[0,0,1] neg_hi:[0,0,1]
	v_mov_b32_e32 v123, v125
	v_pk_add_f32 v[98:99], v[122:123], v[98:99]
	v_mov_b32_e32 v125, v109
	v_pk_mul_f32 v[122:123], v[186:187], s[26:27]
	v_pk_add_f32 v[32:33], v[124:125], v[32:33]
	v_pk_fma_f32 v[108:109], v[188:189], s[28:29], v[122:123] op_sel:[1,0,0] neg_lo:[1,0,0] neg_hi:[1,0,0]
	v_pk_fma_f32 v[124:125], v[180:181], s[28:29], v[122:123]
	v_pk_mul_f32 v[140:141], v[186:187], s[20:21]
	v_mov_b32_e32 v109, v125
	v_pk_add_f32 v[108:109], v[108:109], v[98:99]
	v_pk_fma_f32 v[98:99], v[180:181], s[28:29], v[122:123] neg_lo:[0,0,1] neg_hi:[0,0,1]
	v_pk_fma_f32 v[138:139], v[180:181], s[18:19], v[140:141]
	v_mov_b32_e32 v125, v99
	v_pk_add_f32 v[98:99], v[124:125], v[32:33]
	v_pk_mul_f32 v[32:33], v[186:187], s[54:55]
	v_mul_lo_u16_e32 v50, 17, v228
	v_pk_fma_f32 v[122:123], v[188:189], s[50:51], v[32:33] op_sel:[1,0,0] neg_lo:[1,0,0] neg_hi:[1,0,0]
	v_pk_fma_f32 v[124:125], v[180:181], s[50:51], v[32:33]
	v_pk_fma_f32 v[32:33], v[180:181], s[50:51], v[32:33] neg_lo:[0,0,1] neg_hi:[0,0,1]
	v_mov_b32_e32 v123, v125
	v_mov_b32_e32 v125, v33
	v_pk_fma_f32 v[32:33], v[180:181], s[18:19], v[140:141] neg_lo:[0,0,1] neg_hi:[0,0,1]
	v_pk_add_f32 v[122:123], v[122:123], v[182:183]
	v_mov_b32_e32 v32, v138
	v_pk_add_f32 v[124:125], v[124:125], v[184:185]
	v_pk_add_f32 v[32:33], v[32:33], v[166:167]
	s_barrier
	s_and_saveexec_b64 s[20:21], vcc
	s_cbranch_execz .LBB0_7
; %bb.6:
	v_pk_add_f32 v[28:29], v[28:29], v[36:37]
	v_pk_mul_f32 v[144:145], v[54:55], s[0:1]
	v_pk_add_f32 v[28:29], v[30:31], v[28:29]
	v_pk_add_f32 v[52:53], v[52:53], v[144:145] neg_lo:[0,1] neg_hi:[0,1]
	v_pk_add_f32 v[12:13], v[12:13], v[28:29]
	v_mov_b32_e32 v53, v51
	v_pk_add_f32 v[12:13], v[14:15], v[12:13]
	v_mov_b32_e32 v63, v61
	;; [unrolled: 2-line block ×3, first 2 shown]
	v_pk_add_f32 v[4:5], v[6:7], v[4:5]
	v_pk_mul_f32 v[158:159], v[142:143], s[16:17]
	v_pk_add_f32 v[4:5], v[20:21], v[4:5]
	v_mov_b32_e32 v101, v97
	v_pk_add_f32 v[4:5], v[22:23], v[4:5]
	v_mov_b32_e32 v119, v35
	v_pk_add_f32 v[4:5], v[24:25], v[4:5]
	v_pk_mul_f32 v[172:173], v[164:165], s[44:45]
	v_pk_add_f32 v[4:5], v[26:27], v[4:5]
	v_pk_mul_f32 v[182:183], v[180:181], s[18:19]
	v_pk_add_f32 v[0:1], v[0:1], v[4:5]
	v_pk_add_f32 v[4:5], v[136:137], v[158:159] neg_lo:[0,1] neg_hi:[0,1]
	v_pk_add_f32 v[0:1], v[2:3], v[0:1]
	v_pk_add_f32 v[2:3], v[52:53], v[36:37]
	v_mov_b32_e32 v5, v135
	v_pk_add_f32 v[2:3], v[62:63], v[2:3]
	v_pk_add_f32 v[0:1], v[8:9], v[0:1]
	;; [unrolled: 1-line block ×3, first 2 shown]
	v_pk_mul_f32 v[146:147], v[54:55], s[6:7]
	v_pk_add_f32 v[2:3], v[100:101], v[2:3]
	v_pk_add_f32 v[0:1], v[10:11], v[0:1]
	;; [unrolled: 1-line block ×3, first 2 shown]
	v_pk_mul_f32 v[156:157], v[58:59], s[10:11]
	v_pk_add_f32 v[2:3], v[4:5], v[2:3]
	v_pk_add_f32 v[4:5], v[162:163], v[172:173] neg_lo:[0,1] neg_hi:[0,1]
	v_pk_add_f32 v[56:57], v[56:57], v[146:147] neg_lo:[0,1] neg_hi:[0,1]
	v_mov_b32_e32 v5, v161
	v_pk_add_f32 v[2:3], v[4:5], v[2:3]
	v_pk_add_f32 v[4:5], v[140:141], v[182:183] neg_lo:[0,1] neg_hi:[0,1]
	v_pk_add_f32 v[0:1], v[16:17], v[0:1]
	v_mov_b32_e32 v5, v139
	v_mov_b32_e32 v57, v77
	v_pk_add_f32 v[76:77], v[90:91], v[156:157] neg_lo:[0,1] neg_hi:[0,1]
	v_add_lshl_u32 v12, v190, v50, 3
	v_pk_add_f32 v[0:1], v[18:19], v[0:1]
	v_pk_add_f32 v[2:3], v[4:5], v[2:3]
	v_mov_b32_e32 v77, v83
	ds_write2_b64 v12, v[0:1], v[2:3] offset1:1
	v_pk_add_f32 v[0:1], v[56:57], v[36:37]
	v_mov_b32_e32 v69, v67
	v_pk_add_f32 v[0:1], v[76:77], v[0:1]
	v_pk_mul_f32 v[166:167], v[142:143], s[22:23]
	v_pk_add_f32 v[0:1], v[68:69], v[0:1]
	v_mov_b32_e32 v87, v85
	v_pk_add_f32 v[0:1], v[86:87], v[0:1]
	v_mov_b32_e32 v115, v113
	v_pk_add_f32 v[2:3], v[132:133], v[166:167] neg_lo:[0,1] neg_hi:[0,1]
	v_pk_mul_f32 v[174:175], v[164:165], s[48:49]
	v_pk_add_f32 v[0:1], v[114:115], v[0:1]
	v_mov_b32_e32 v3, v131
	v_pk_add_f32 v[0:1], v[2:3], v[0:1]
	v_pk_add_f32 v[2:3], v[154:155], v[174:175] neg_lo:[0,1] neg_hi:[0,1]
	v_pk_mul_f32 v[54:55], v[54:55], s[14:15]
	v_pk_mul_f32 v[184:185], v[180:181], s[42:43]
	v_mov_b32_e32 v3, v153
	v_pk_mul_f32 v[58:59], v[58:59], s[16:17]
	v_pk_add_f32 v[54:55], v[104:105], v[54:55] neg_lo:[0,1] neg_hi:[0,1]
	v_pk_add_f32 v[0:1], v[2:3], v[0:1]
	v_pk_add_f32 v[2:3], v[178:179], v[184:185] neg_lo:[0,1] neg_hi:[0,1]
	v_mov_b32_e32 v55, v103
	v_pk_add_f32 v[58:59], v[110:111], v[58:59] neg_lo:[0,1] neg_hi:[0,1]
	v_mov_b32_e32 v3, v177
	v_mov_b32_e32 v59, v107
	v_pk_add_f32 v[0:1], v[2:3], v[0:1]
	v_pk_add_f32 v[2:3], v[54:55], v[36:37]
	v_mov_b32_e32 v65, v121
	v_pk_add_f32 v[2:3], v[58:59], v[2:3]
	v_pk_mul_f32 v[142:143], v[142:143], s[0:1]
	v_pk_add_f32 v[2:3], v[64:65], v[2:3]
	v_mov_b32_e32 v73, v71
	v_pk_add_f32 v[2:3], v[72:73], v[2:3]
	v_mov_b32_e32 v95, v93
	v_pk_add_f32 v[4:5], v[128:129], v[142:143] neg_lo:[0,1] neg_hi:[0,1]
	v_pk_mul_f32 v[164:165], v[164:165], s[10:11]
	v_pk_add_f32 v[2:3], v[94:95], v[2:3]
	v_mov_b32_e32 v5, v127
	v_pk_add_f32 v[2:3], v[4:5], v[2:3]
	v_pk_add_f32 v[4:5], v[150:151], v[164:165] neg_lo:[0,1] neg_hi:[0,1]
	v_pk_mul_f32 v[180:181], v[180:181], s[44:45]
	v_mov_b32_e32 v5, v149
	v_pk_add_f32 v[2:3], v[4:5], v[2:3]
	v_pk_add_f32 v[4:5], v[170:171], v[180:181] neg_lo:[0,1] neg_hi:[0,1]
	s_nop 0
	v_mov_b32_e32 v5, v169
	v_pk_add_f32 v[2:3], v[4:5], v[2:3]
	ds_write2_b64 v12, v[0:1], v[2:3] offset0:2 offset1:3
	ds_write2_b64 v12, v[44:45], v[48:49] offset0:4 offset1:5
	;; [unrolled: 1-line block ×7, first 2 shown]
	ds_write_b64 v12, v[32:33] offset:128
.LBB0_7:
	s_or_b64 exec, exec, s[20:21]
	v_mad_u64_u32 v[4:5], s[4:5], v228, 24, s[4:5]
	s_load_dwordx4 s[0:3], s[2:3], 0x0
	s_waitcnt lgkmcnt(0)
	s_barrier
	global_load_dwordx4 v[0:3], v[4:5], off
	global_load_dwordx2 v[12:13], v[4:5], off offset:16
	v_add_lshl_u32 v111, v190, v228, 3
	ds_read2_b64 v[4:7], v111 offset1:17
	ds_read2_b64 v[8:11], v111 offset0:34 offset1:51
	v_lshl_add_u32 v230, v228, 3, v191
	s_waitcnt vmcnt(1) lgkmcnt(1)
	v_pk_mul_f32 v[14:15], v[6:7], v[0:1] op_sel:[0,1]
	v_mov_b32_e32 v16, v3
	s_waitcnt vmcnt(0) lgkmcnt(0)
	v_pk_mul_f32 v[18:19], v[10:11], v[12:13] op_sel:[0,1]
	v_pk_fma_f32 v[20:21], v[6:7], v[0:1], v[14:15] op_sel:[1,0,0] op_sel_hi:[0,0,1]
	v_pk_fma_f32 v[6:7], v[6:7], v[0:1], v[14:15] op_sel:[1,0,0] op_sel_hi:[0,0,1] neg_lo:[0,0,1] neg_hi:[0,0,1]
	v_pk_mul_f32 v[14:15], v[8:9], v[16:17] op_sel_hi:[1,0]
	v_pk_fma_f32 v[16:17], v[10:11], v[12:13], v[18:19] op_sel:[1,0,0] op_sel_hi:[0,1,1]
	v_pk_fma_f32 v[10:11], v[10:11], v[12:13], v[18:19] op_sel:[1,0,0] op_sel_hi:[0,0,1] neg_lo:[0,0,1] neg_hi:[0,0,1]
	v_pk_fma_f32 v[18:19], v[8:9], v[2:3], v[14:15] op_sel:[0,0,1] op_sel_hi:[1,1,0] neg_lo:[0,0,1] neg_hi:[0,0,1]
	v_pk_fma_f32 v[8:9], v[8:9], v[2:3], v[14:15] op_sel:[0,0,1] op_sel_hi:[1,0,0]
	v_mov_b32_e32 v21, v7
	v_mov_b32_e32 v17, v11
	;; [unrolled: 1-line block ×3, first 2 shown]
	v_pk_add_f32 v[10:11], v[20:21], v[16:17] neg_lo:[0,1] neg_hi:[0,1]
	v_pk_add_f32 v[16:17], v[4:5], v[18:19] neg_lo:[0,1] neg_hi:[0,1]
	v_fma_f32 v6, v7, 2.0, -v11
	v_fma_f32 v7, v20, 2.0, -v10
	;; [unrolled: 1-line block ×4, first 2 shown]
	v_pk_add_f32 v[8:9], v[16:17], v[10:11] neg_lo:[0,1] neg_hi:[0,1]
	v_pk_add_f32 v[10:11], v[16:17], v[10:11]
	v_pk_add_f32 v[6:7], v[4:5], v[6:7] neg_lo:[0,1] neg_hi:[0,1]
	v_mov_b32_e32 v9, v11
	v_pk_fma_f32 v[14:15], v[4:5], 2.0, v[6:7] op_sel_hi:[1,0,1] neg_lo:[0,0,1] neg_hi:[0,0,1]
	v_pk_fma_f32 v[4:5], v[16:17], 2.0, v[8:9] op_sel_hi:[1,0,1] neg_lo:[0,0,1] neg_hi:[0,0,1]
	ds_write2_b64 v230, v[6:7], v[8:9] offset0:34 offset1:51
	ds_write2_b64 v230, v[14:15], v[4:5] offset1:17
	s_waitcnt lgkmcnt(0)
	s_barrier
	s_and_saveexec_b64 s[4:5], vcc
	s_cbranch_execz .LBB0_9
; %bb.8:
	global_load_dwordx2 v[10:11], v231, s[8:9] offset:544
	s_add_u32 s6, s8, 0x220
	s_addc_u32 s7, s9, 0
	global_load_dwordx2 v[36:37], v231, s[6:7] offset:32
	global_load_dwordx2 v[64:65], v231, s[6:7] offset:64
	global_load_dwordx2 v[66:67], v231, s[6:7] offset:96
	global_load_dwordx2 v[68:69], v231, s[6:7] offset:128
	global_load_dwordx2 v[70:71], v231, s[6:7] offset:160
	global_load_dwordx2 v[72:73], v231, s[6:7] offset:192
	global_load_dwordx2 v[76:77], v231, s[6:7] offset:224
	global_load_dwordx2 v[78:79], v231, s[6:7] offset:256
	global_load_dwordx2 v[80:81], v231, s[6:7] offset:288
	global_load_dwordx2 v[82:83], v231, s[6:7] offset:320
	global_load_dwordx2 v[84:85], v231, s[6:7] offset:352
	global_load_dwordx2 v[86:87], v231, s[6:7] offset:384
	global_load_dwordx2 v[90:91], v231, s[6:7] offset:416
	global_load_dwordx2 v[92:93], v231, s[6:7] offset:448
	ds_read_b64 v[16:17], v225
	global_load_dwordx2 v[94:95], v231, s[6:7] offset:480
	global_load_dwordx2 v[96:97], v231, s[6:7] offset:512
	s_waitcnt vmcnt(16) lgkmcnt(0)
	v_mul_f32_e32 v18, v17, v11
	v_mul_f32_e32 v19, v16, v11
	v_fma_f32 v18, v16, v10, -v18
	v_fmac_f32_e32 v19, v17, v10
	ds_write_b64 v225, v[18:19]
	ds_read2_b64 v[16:19], v230 offset0:4 offset1:8
	ds_read2_b64 v[20:23], v230 offset0:12 offset1:16
	;; [unrolled: 1-line block ×7, first 2 shown]
	s_waitcnt vmcnt(15) lgkmcnt(6)
	v_mul_f32_e32 v10, v17, v37
	v_mul_f32_e32 v11, v16, v37
	s_waitcnt vmcnt(14)
	v_mul_f32_e32 v34, v19, v65
	v_mul_f32_e32 v37, v18, v65
	s_waitcnt vmcnt(13) lgkmcnt(5)
	v_mul_f32_e32 v35, v21, v67
	v_mul_f32_e32 v65, v20, v67
	s_waitcnt vmcnt(12)
	v_mul_f32_e32 v51, v23, v69
	v_mul_f32_e32 v67, v22, v69
	;; [unrolled: 6-line block ×6, first 2 shown]
	v_fma_f32 v10, v16, v36, -v10
	v_fmac_f32_e32 v11, v17, v36
	v_fma_f32 v36, v18, v64, -v34
	v_fmac_f32_e32 v37, v19, v64
	v_fma_f32 v64, v20, v66, -v35
	v_fmac_f32_e32 v65, v21, v66
	v_fma_f32 v66, v22, v68, -v51
	v_fmac_f32_e32 v67, v23, v68
	v_fma_f32 v68, v24, v70, -v100
	v_fmac_f32_e32 v69, v25, v70
	v_fma_f32 v70, v26, v72, -v101
	v_fmac_f32_e32 v71, v27, v72
	v_fma_f32 v72, v28, v76, -v102
	v_fmac_f32_e32 v73, v29, v76
	v_fma_f32 v76, v30, v78, -v103
	v_fmac_f32_e32 v77, v31, v78
	v_fma_f32 v78, v52, v80, -v104
	v_fmac_f32_e32 v79, v53, v80
	v_fma_f32 v80, v54, v82, -v105
	v_fmac_f32_e32 v81, v55, v82
	v_fma_f32 v82, v56, v84, -v106
	v_fmac_f32_e32 v83, v57, v84
	v_fma_f32 v84, v58, v86, -v107
	v_fmac_f32_e32 v85, v59, v86
	ds_write2_b64 v230, v[10:11], v[36:37] offset0:4 offset1:8
	ds_write2_b64 v230, v[64:65], v[66:67] offset0:12 offset1:16
	ds_write2_b64 v230, v[68:69], v[70:71] offset0:20 offset1:24
	ds_write2_b64 v230, v[72:73], v[76:77] offset0:28 offset1:32
	ds_write2_b64 v230, v[78:79], v[80:81] offset0:36 offset1:40
	ds_write2_b64 v230, v[82:83], v[84:85] offset0:44 offset1:48
	ds_read2_b64 v[16:19], v230 offset0:60 offset1:64
	s_waitcnt vmcnt(3) lgkmcnt(7)
	v_mul_f32_e32 v110, v61, v91
	v_mul_f32_e32 v87, v60, v91
	s_waitcnt vmcnt(2)
	v_mul_f32_e32 v91, v63, v93
	v_mul_f32_e32 v11, v62, v93
	v_fma_f32 v86, v60, v90, -v110
	v_fmac_f32_e32 v87, v61, v90
	v_fma_f32 v10, v62, v92, -v91
	v_fmac_f32_e32 v11, v63, v92
	ds_write2_b64 v230, v[86:87], v[10:11] offset0:52 offset1:56
	s_waitcnt vmcnt(1) lgkmcnt(1)
	v_mul_f32_e32 v10, v17, v95
	v_mul_f32_e32 v11, v16, v95
	v_fma_f32 v10, v16, v94, -v10
	v_fmac_f32_e32 v11, v17, v94
	s_waitcnt vmcnt(0)
	v_mul_f32_e32 v16, v19, v97
	v_mul_f32_e32 v17, v18, v97
	v_fma_f32 v16, v18, v96, -v16
	v_fmac_f32_e32 v17, v19, v96
	ds_write2_b64 v230, v[10:11], v[16:17] offset0:60 offset1:64
.LBB0_9:
	s_or_b64 exec, exec, s[4:5]
	s_waitcnt lgkmcnt(0)
	s_barrier
	s_and_saveexec_b64 s[4:5], vcc
	s_cbranch_execz .LBB0_11
; %bb.10:
	ds_read2_b64 v[4:7], v230 offset0:4 offset1:8
	ds_read_b64 v[14:15], v225
	ds_read2_b64 v[8:11], v230 offset0:12 offset1:16
	ds_read2_b64 v[16:19], v230 offset0:20 offset1:24
	;; [unrolled: 1-line block ×7, first 2 shown]
	s_waitcnt lgkmcnt(4)
	v_mov_b64_e32 v[38:39], v[30:31]
	s_waitcnt lgkmcnt(3)
	v_mov_b64_e32 v[40:41], v[22:23]
	v_mov_b64_e32 v[42:43], v[20:21]
	s_waitcnt lgkmcnt(1)
	v_mov_b64_e32 v[74:75], v[44:45]
	s_waitcnt lgkmcnt(0)
	v_mov_b64_e32 v[98:99], v[54:55]
	v_mov_b64_e32 v[124:125], v[52:53]
	;; [unrolled: 1-line block ×7, first 2 shown]
.LBB0_11:
	s_or_b64 exec, exec, s[4:5]
	v_mov_b32_e32 v18, v0
	v_mov_b32_e32 v19, v0
	;; [unrolled: 1-line block ×9, first 2 shown]
	s_barrier
	s_and_saveexec_b64 s[4:5], vcc
	s_cbranch_execz .LBB0_13
; %bb.12:
	v_pk_add_f32 v[20:21], v[4:5], v[14:15]
	v_pk_add_f32 v[130:131], v[4:5], v[32:33] neg_lo:[0,1] neg_hi:[0,1]
	v_pk_add_f32 v[20:21], v[6:7], v[20:21]
	s_mov_b32 s6, 0x3f6eb680
	v_pk_add_f32 v[20:21], v[8:9], v[20:21]
	s_mov_b32 s30, 0xbeb8f4ab
	v_pk_add_f32 v[20:21], v[44:45], v[20:21]
	v_pk_add_f32 v[86:87], v[122:123], v[124:125]
	;; [unrolled: 1-line block ×3, first 2 shown]
	v_pk_add_f32 v[56:57], v[122:123], v[124:125] neg_lo:[0,1] neg_hi:[0,1]
	v_pk_add_f32 v[20:21], v[88:89], v[20:21]
	v_pk_add_f32 v[114:115], v[38:39], v[6:7]
	;; [unrolled: 1-line block ×3, first 2 shown]
	s_mov_b32 s7, 0x3eb8f4ab
	v_pk_add_f32 v[20:21], v[122:123], v[20:21]
	v_pk_add_f32 v[122:123], v[6:7], v[38:39] neg_lo:[0,1] neg_hi:[0,1]
	v_pk_add_f32 v[20:21], v[124:125], v[20:21]
	v_pk_add_f32 v[124:125], v[32:33], v[4:5]
	;; [unrolled: 1-line block ×3, first 2 shown]
	v_pk_mul_f32 v[6:7], v[130:131], s[30:31] op_sel_hi:[1,0]
	v_pk_add_f32 v[20:21], v[74:75], v[20:21]
	s_mov_b32 s44, 0xbf2c7751
	v_pk_add_f32 v[20:21], v[46:47], v[20:21]
	v_pk_add_f32 v[104:105], v[40:41], v[8:9]
	;; [unrolled: 1-line block ×3, first 2 shown]
	v_pk_add_f32 v[106:107], v[8:9], v[40:41] neg_lo:[0,1] neg_hi:[0,1]
	v_pk_add_f32 v[20:21], v[40:41], v[20:21]
	v_pk_fma_f32 v[8:9], v[124:125], s[6:7], v[6:7] op_sel:[0,0,1] op_sel_hi:[1,0,0]
	v_pk_add_f32 v[20:21], v[38:39], v[20:21]
	v_pk_fma_f32 v[40:41], v[124:125], s[6:7], v[6:7] op_sel:[0,0,1] op_sel_hi:[1,0,0] neg_lo:[0,0,1] neg_hi:[0,0,1]
	v_pk_add_f32 v[58:59], v[32:33], v[20:21]
	s_mov_b32 s24, 0x3f3d2fb0
	v_pk_mul_f32 v[20:21], v[122:123], s[44:45] op_sel_hi:[1,0]
	v_accvgpr_write_b32 a1, v9
	v_mov_b32_e32 v9, v41
	v_pk_fma_f32 v[24:25], v[114:115], s[24:25], v[20:21] op_sel:[0,0,1] op_sel_hi:[1,0,0]
	v_pk_fma_f32 v[20:21], v[114:115], s[24:25], v[20:21] op_sel:[0,0,1] op_sel_hi:[1,0,0] neg_lo:[0,0,1] neg_hi:[0,0,1]
	v_pk_add_f32 v[22:23], v[14:15], v[8:9]
	v_accvgpr_write_b32 a3, v25
	v_mov_b32_e32 v25, v21
	s_mov_b32 s14, 0x3ee437d1
	s_mov_b32 s50, 0xbf65296c
	v_pk_add_f32 v[26:27], v[24:25], v[22:23]
	s_mov_b32 s15, 0x3f65296c
	v_pk_mul_f32 v[24:25], v[106:107], s[50:51] op_sel_hi:[1,0]
	v_pk_add_f32 v[100:101], v[44:45], v[42:43] neg_lo:[0,1] neg_hi:[0,1]
	v_pk_fma_f32 v[28:29], v[104:105], s[14:15], v[24:25] op_sel:[0,0,1] op_sel_hi:[1,0,0]
	v_pk_fma_f32 v[24:25], v[104:105], s[14:15], v[24:25] op_sel:[0,0,1] op_sel_hi:[1,0,0] neg_lo:[0,0,1] neg_hi:[0,0,1]
	v_accvgpr_write_b32 a5, v29
	v_mov_b32_e32 v29, v25
	s_mov_b32 s38, 0xbf7ee86f
	v_pk_add_f32 v[96:97], v[42:43], v[44:45]
	v_pk_add_f32 v[30:31], v[28:29], v[26:27]
	s_mov_b32 s22, 0x3dbcf732
	v_pk_mul_f32 v[28:29], v[100:101], s[38:39] op_sel_hi:[1,0]
	v_pk_add_f32 v[94:95], v[48:49], v[46:47] neg_lo:[0,1] neg_hi:[0,1]
	v_pk_fma_f32 v[32:33], v[96:97], s[22:23], v[28:29] op_sel:[0,0,1] op_sel_hi:[1,0,0]
	v_pk_fma_f32 v[28:29], v[96:97], s[22:23], v[28:29] op_sel:[0,0,1] op_sel_hi:[1,0,0] neg_lo:[0,0,1] neg_hi:[0,0,1]
	v_accvgpr_write_b32 a7, v33
	v_mov_b32_e32 v33, v29
	s_mov_b32 s20, 0xbe8c1d8e
	v_pk_add_f32 v[92:93], v[88:89], v[74:75]
	v_pk_add_f32 v[52:53], v[88:89], v[74:75] neg_lo:[0,1] neg_hi:[0,1]
	v_pk_add_f32 v[88:89], v[46:47], v[48:49]
	v_pk_add_f32 v[36:37], v[32:33], v[30:31]
	s_mov_b32 s21, 0x3f763a35
	v_pk_mul_f32 v[32:33], v[94:95], s[28:29] op_sel_hi:[1,0]
	s_mov_b32 s10, 0xbf1a4643
	v_pk_fma_f32 v[38:39], v[88:89], s[20:21], v[32:33] op_sel:[0,0,1] op_sel_hi:[1,0,0]
	v_pk_fma_f32 v[32:33], v[88:89], s[20:21], v[32:33] op_sel:[0,0,1] op_sel_hi:[1,0,0] neg_lo:[0,0,1] neg_hi:[0,0,1]
	v_accvgpr_write_b32 a9, v39
	v_mov_b32_e32 v39, v33
	s_mov_b32 s11, 0xbf4c4adb
	v_pk_add_f32 v[42:43], v[38:39], v[36:37]
	v_mov_b32_e32 v36, v92
	v_mov_b32_e32 v92, v53
	s_mov_b32 s54, s11
	s_mov_b32 s55, s10
	v_mov_b32_e32 v37, v52
	v_pk_mul_f32 v[6:7], v[92:93], s[54:55]
	s_mov_b32 s16, 0xbf59a7d5
	v_pk_fma_f32 v[4:5], v[36:37], s[10:11], v[6:7]
	v_pk_fma_f32 v[44:45], v[36:37], s[10:11], v[6:7] neg_lo:[1,0,0] neg_hi:[1,0,0]
	v_pk_add_f32 v[90:91], v[108:109], v[98:99]
	v_pk_add_f32 v[54:55], v[108:109], v[98:99] neg_lo:[0,1] neg_hi:[0,1]
	v_mov_b32_e32 v44, v4
	s_mov_b32 s17, 0xbf06c442
	v_accvgpr_write_b32 a13, v7
	v_pk_add_f32 v[48:49], v[44:45], v[42:43]
	v_mov_b32_e32 v42, v90
	v_mov_b32_e32 v90, v55
	s_mov_b32 s34, s17
	s_mov_b32 s35, s16
	v_accvgpr_write_b32 a12, v6
	v_mov_b32_e32 v43, v54
	v_pk_mul_f32 v[6:7], v[90:91], s[34:35]
	v_lshl_add_u32 v229, v50, 3, v191
	v_accvgpr_write_b32 a11, v5
	v_pk_fma_f32 v[4:5], v[42:43], s[16:17], v[6:7]
	v_pk_fma_f32 v[50:51], v[42:43], s[16:17], v[6:7] neg_lo:[1,0,0] neg_hi:[1,0,0]
	s_mov_b32 s18, 0xbf7ba420
	v_mov_b32_e32 v50, v4
	s_mov_b32 s19, 0xbe3c28d5
	v_accvgpr_write_b32 a17, v7
	v_pk_add_f32 v[54:55], v[50:51], v[48:49]
	v_mov_b32_e32 v48, v86
	v_mov_b32_e32 v86, v57
	s_mov_b32 s42, s19
	s_mov_b32 s43, s18
	v_accvgpr_write_b32 a16, v6
	v_mov_b32_e32 v49, v56
	v_pk_mul_f32 v[6:7], v[86:87], s[42:43]
	v_accvgpr_write_b32 a15, v5
	v_pk_fma_f32 v[4:5], v[48:49], s[18:19], v[6:7]
	v_pk_fma_f32 v[56:57], v[48:49], s[18:19], v[6:7] neg_lo:[1,0,0] neg_hi:[1,0,0]
	v_pk_mul_f32 v[68:69], v[130:131], s[44:45] op_sel_hi:[1,0]
	v_mov_b32_e32 v56, v4
	v_pk_add_f32 v[54:55], v[56:57], v[54:55]
	ds_write2_b64 v229, v[58:59], v[54:55] offset1:1
	v_pk_fma_f32 v[58:59], v[124:125], s[24:25], v[68:69] op_sel:[0,0,1] op_sel_hi:[1,0,0]
	v_pk_fma_f32 v[68:69], v[124:125], s[24:25], v[68:69] op_sel:[0,0,1] op_sel_hi:[1,0,0] neg_lo:[0,0,1] neg_hi:[0,0,1]
	v_mov_b32_e32 v70, v58
	v_mov_b32_e32 v71, v69
	v_pk_mul_f32 v[72:73], v[122:123], s[38:39] op_sel_hi:[1,0]
	v_pk_add_f32 v[74:75], v[14:15], v[70:71]
	v_pk_fma_f32 v[70:71], v[114:115], s[22:23], v[72:73] op_sel:[0,0,1] op_sel_hi:[1,0,0]
	v_pk_fma_f32 v[72:73], v[114:115], s[22:23], v[72:73] op_sel:[0,0,1] op_sel_hi:[1,0,0] neg_lo:[0,0,1] neg_hi:[0,0,1]
	v_mov_b32_e32 v76, v70
	v_mov_b32_e32 v77, v73
	s_mov_b32 s40, s11
	v_pk_mul_f32 v[120:121], v[130:131], s[50:51] op_sel_hi:[1,0]
	v_pk_add_f32 v[78:79], v[76:77], v[74:75]
	v_pk_mul_f32 v[76:77], v[106:107], s[40:41] op_sel_hi:[1,0]
	v_pk_fma_f32 v[54:55], v[124:125], s[14:15], v[120:121] op_sel:[0,0,1] op_sel_hi:[1,0,0]
	v_pk_fma_f32 v[120:121], v[124:125], s[14:15], v[120:121] op_sel:[0,0,1] op_sel_hi:[1,0,0] neg_lo:[0,0,1] neg_hi:[0,0,1]
	v_pk_fma_f32 v[74:75], v[104:105], s[10:11], v[76:77] op_sel:[0,0,1] op_sel_hi:[1,0,0]
	v_pk_fma_f32 v[76:77], v[104:105], s[10:11], v[76:77] op_sel:[0,0,1] op_sel_hi:[1,0,0] neg_lo:[0,0,1] neg_hi:[0,0,1]
	v_mov_b32_e32 v126, v54
	v_mov_b32_e32 v127, v121
	v_pk_mul_f32 v[128:129], v[122:123], s[40:41] op_sel_hi:[1,0]
	v_mov_b32_e32 v80, v74
	v_mov_b32_e32 v81, v77
	s_mov_b32 s46, s19
	v_pk_add_f32 v[132:133], v[14:15], v[126:127]
	v_pk_fma_f32 v[126:127], v[114:115], s[10:11], v[128:129] op_sel:[0,0,1] op_sel_hi:[1,0,0]
	v_pk_fma_f32 v[128:129], v[114:115], s[10:11], v[128:129] op_sel:[0,0,1] op_sel_hi:[1,0,0] neg_lo:[0,0,1] neg_hi:[0,0,1]
	v_pk_add_f32 v[82:83], v[80:81], v[78:79]
	v_pk_mul_f32 v[80:81], v[100:101], s[46:47] op_sel_hi:[1,0]
	v_mov_b32_e32 v134, v126
	v_mov_b32_e32 v135, v129
	s_mov_b32 s48, 0x3e3c28d5
	v_pk_fma_f32 v[78:79], v[96:97], s[18:19], v[80:81] op_sel:[0,0,1] op_sel_hi:[1,0,0]
	v_pk_fma_f32 v[80:81], v[96:97], s[18:19], v[80:81] op_sel:[0,0,1] op_sel_hi:[1,0,0] neg_lo:[0,0,1] neg_hi:[0,0,1]
	v_pk_add_f32 v[136:137], v[134:135], v[132:133]
	v_pk_mul_f32 v[134:135], v[106:107], s[48:49] op_sel_hi:[1,0]
	v_mov_b32_e32 v84, v78
	v_mov_b32_e32 v85, v81
	s_mov_b32 s62, 0x3f06c442
	s_mov_b32 s39, s22
	v_pk_fma_f32 v[132:133], v[104:105], s[18:19], v[134:135] op_sel:[0,0,1] op_sel_hi:[1,0,0]
	v_pk_fma_f32 v[134:135], v[104:105], s[18:19], v[134:135] op_sel:[0,0,1] op_sel_hi:[1,0,0] neg_lo:[0,0,1] neg_hi:[0,0,1]
	s_mov_b32 s26, s21
	s_mov_b32 s27, s20
	v_mov_b32_e32 v69, v111
	v_pk_add_f32 v[110:111], v[84:85], v[82:83]
	v_pk_mul_f32 v[84:85], v[94:95], s[62:63] op_sel_hi:[1,0]
	s_mov_b32 s23, s38
	v_mov_b32_e32 v138, v132
	v_mov_b32_e32 v139, v135
	s_mov_b32 s60, s21
	v_pk_mul_f32 v[158:159], v[130:131], s[38:39] op_sel_hi:[1,0]
	v_pk_mul_f32 v[56:57], v[92:93], s[26:27]
	s_mov_b32 s36, s15
	s_mov_b32 s37, s14
	v_pk_fma_f32 v[82:83], v[88:89], s[16:17], v[84:85] op_sel:[0,0,1] op_sel_hi:[1,0,0]
	v_pk_fma_f32 v[84:85], v[88:89], s[16:17], v[84:85] op_sel:[0,0,1] op_sel_hi:[1,0,0] neg_lo:[0,0,1] neg_hi:[0,0,1]
	v_pk_add_f32 v[140:141], v[138:139], v[136:137]
	v_pk_mul_f32 v[138:139], v[100:101], s[60:61] op_sel_hi:[1,0]
	v_pk_fma_f32 v[52:53], v[124:125], s[22:23], v[158:159] op_sel:[0,0,1] op_sel_hi:[1,0,0]
	v_pk_fma_f32 v[158:159], v[124:125], s[22:23], v[158:159] op_sel:[0,0,1] op_sel_hi:[1,0,0] neg_lo:[0,0,1] neg_hi:[0,0,1]
	v_accvgpr_write_b32 a19, v5
	v_pk_fma_f32 v[4:5], v[36:37], s[20:21], v[56:57]
	v_pk_fma_f32 v[98:99], v[36:37], s[20:21], v[56:57] neg_lo:[1,0,0] neg_hi:[1,0,0]
	v_pk_mul_f32 v[60:61], v[90:91], s[36:37]
	s_mov_b32 s26, s7
	s_mov_b32 s27, s6
	v_mov_b32_e32 v112, v82
	v_mov_b32_e32 v113, v85
	v_pk_fma_f32 v[136:137], v[96:97], s[20:21], v[138:139] op_sel:[0,0,1] op_sel_hi:[1,0,0]
	v_pk_fma_f32 v[138:139], v[96:97], s[20:21], v[138:139] op_sel:[0,0,1] op_sel_hi:[1,0,0] neg_lo:[0,0,1] neg_hi:[0,0,1]
	v_mov_b32_e32 v160, v52
	v_mov_b32_e32 v161, v159
	v_pk_mul_f32 v[162:163], v[122:123], s[46:47] op_sel_hi:[1,0]
	v_mov_b32_e32 v98, v4
	v_accvgpr_write_b32 a23, v5
	v_pk_fma_f32 v[4:5], v[42:43], s[14:15], v[60:61]
	v_pk_fma_f32 v[102:103], v[42:43], s[14:15], v[60:61] neg_lo:[1,0,0] neg_hi:[1,0,0]
	v_pk_mul_f32 v[64:65], v[86:87], s[26:27]
	v_pk_add_f32 v[110:111], v[112:113], v[110:111]
	v_mov_b32_e32 v142, v136
	v_mov_b32_e32 v143, v139
	s_mov_b32 s52, 0x3f2c7751
	v_pk_add_f32 v[164:165], v[14:15], v[160:161]
	v_pk_fma_f32 v[160:161], v[114:115], s[18:19], v[162:163] op_sel:[0,0,1] op_sel_hi:[1,0,0]
	v_pk_fma_f32 v[162:163], v[114:115], s[18:19], v[162:163] op_sel:[0,0,1] op_sel_hi:[1,0,0] neg_lo:[0,0,1] neg_hi:[0,0,1]
	v_mov_b32_e32 v102, v4
	v_accvgpr_write_b32 a25, v5
	v_pk_fma_f32 v[4:5], v[48:49], s[6:7], v[64:65]
	v_pk_fma_f32 v[108:109], v[48:49], s[6:7], v[64:65] neg_lo:[1,0,0] neg_hi:[1,0,0]
	v_pk_add_f32 v[98:99], v[98:99], v[110:111]
	s_mov_b32 s31, s6
	v_pk_add_f32 v[152:153], v[142:143], v[140:141]
	v_pk_mul_f32 v[142:143], v[94:95], s[52:53] op_sel_hi:[1,0]
	v_mov_b32_e32 v166, v160
	v_mov_b32_e32 v167, v163
	v_pk_mul_f32 v[190:191], v[130:131], s[28:29] op_sel_hi:[1,0]
	v_mov_b32_e32 v108, v4
	v_pk_add_f32 v[98:99], v[102:103], v[98:99]
	s_mov_b32 s26, s6
	s_mov_b32 s27, s30
	v_pk_mul_f32 v[102:103], v[92:93], s[30:31]
	v_pk_fma_f32 v[140:141], v[88:89], s[24:25], v[142:143] op_sel:[0,0,1] op_sel_hi:[1,0,0]
	v_pk_fma_f32 v[142:143], v[88:89], s[24:25], v[142:143] op_sel:[0,0,1] op_sel_hi:[1,0,0] neg_lo:[0,0,1] neg_hi:[0,0,1]
	v_pk_add_f32 v[168:169], v[166:167], v[164:165]
	v_pk_mul_f32 v[166:167], v[106:107], s[60:61] op_sel_hi:[1,0]
	v_pk_fma_f32 v[188:189], v[124:125], s[20:21], v[190:191] op_sel:[0,0,1] op_sel_hi:[1,0,0]
	v_pk_fma_f32 v[190:191], v[124:125], s[20:21], v[190:191] op_sel:[0,0,1] op_sel_hi:[1,0,0] neg_lo:[0,0,1] neg_hi:[0,0,1]
	v_pk_add_f32 v[144:145], v[108:109], v[98:99]
	v_pk_fma_f32 v[98:99], v[36:37], s[26:27], v[102:103]
	v_pk_fma_f32 v[146:147], v[36:37], s[26:27], v[102:103] neg_lo:[1,0,0] neg_hi:[1,0,0]
	v_pk_mul_f32 v[110:111], v[90:91], s[38:39]
	v_mov_b32_e32 v154, v140
	v_mov_b32_e32 v155, v143
	v_pk_fma_f32 v[164:165], v[104:105], s[20:21], v[166:167] op_sel:[0,0,1] op_sel_hi:[1,0,0]
	v_pk_fma_f32 v[166:167], v[104:105], s[20:21], v[166:167] op_sel:[0,0,1] op_sel_hi:[1,0,0] neg_lo:[0,0,1] neg_hi:[0,0,1]
	v_mov_b32_e32 v192, v188
	v_mov_b32_e32 v193, v191
	v_pk_mul_f32 v[194:195], v[122:123], s[62:63] op_sel_hi:[1,0]
	v_mov_b32_e32 v146, v98
	v_pk_fma_f32 v[108:109], v[42:43], s[22:23], v[110:111]
	v_pk_fma_f32 v[148:149], v[42:43], s[22:23], v[110:111] neg_lo:[1,0,0] neg_hi:[1,0,0]
	v_pk_mul_f32 v[50:51], v[86:87], s[34:35]
	v_pk_add_f32 v[152:153], v[154:155], v[152:153]
	v_mov_b32_e32 v170, v164
	v_mov_b32_e32 v171, v167
	s_mov_b32 s58, s7
	v_pk_add_f32 v[196:197], v[14:15], v[192:193]
	v_pk_fma_f32 v[192:193], v[114:115], s[16:17], v[194:195] op_sel:[0,0,1] op_sel_hi:[1,0,0]
	v_pk_fma_f32 v[194:195], v[114:115], s[16:17], v[194:195] op_sel:[0,0,1] op_sel_hi:[1,0,0] neg_lo:[0,0,1] neg_hi:[0,0,1]
	v_mov_b32_e32 v148, v108
	v_pk_fma_f32 v[112:113], v[48:49], s[16:17], v[50:51]
	v_pk_fma_f32 v[150:151], v[48:49], s[16:17], v[50:51] neg_lo:[1,0,0] neg_hi:[1,0,0]
	v_pk_add_f32 v[146:147], v[146:147], v[152:153]
	s_mov_b32 s53, s24
	v_pk_add_f32 v[172:173], v[170:171], v[168:169]
	v_pk_mul_f32 v[170:171], v[100:101], s[58:59] op_sel_hi:[1,0]
	v_mov_b32_e32 v198, v192
	v_mov_b32_e32 v199, v195
	;; [unrolled: 1-line block ×3, first 2 shown]
	v_pk_add_f32 v[146:147], v[148:149], v[146:147]
	s_mov_b32 s25, s52
	v_pk_fma_f32 v[168:169], v[96:97], s[6:7], v[170:171] op_sel:[0,0,1] op_sel_hi:[1,0,0]
	v_pk_fma_f32 v[170:171], v[96:97], s[6:7], v[170:171] op_sel:[0,0,1] op_sel_hi:[1,0,0] neg_lo:[0,0,1] neg_hi:[0,0,1]
	v_pk_add_f32 v[200:201], v[198:199], v[196:197]
	v_pk_mul_f32 v[198:199], v[106:107], s[52:53] op_sel_hi:[1,0]
	v_pk_add_f32 v[146:147], v[150:151], v[146:147]
	v_mov_b32_e32 v174, v168
	v_mov_b32_e32 v175, v171
	v_pk_fma_f32 v[196:197], v[104:105], s[24:25], v[198:199] op_sel:[0,0,1] op_sel_hi:[1,0,0]
	v_pk_fma_f32 v[198:199], v[104:105], s[24:25], v[198:199] op_sel:[0,0,1] op_sel_hi:[1,0,0] neg_lo:[0,0,1] neg_hi:[0,0,1]
	ds_write2_b64 v229, v[144:145], v[146:147] offset0:2 offset1:3
	v_pk_mul_f32 v[146:147], v[92:93], s[34:35]
	s_mov_b32 s35, 0x3f4c4adb
	v_pk_add_f32 v[182:183], v[174:175], v[172:173]
	v_pk_mul_f32 v[174:175], v[94:95], s[50:51] op_sel_hi:[1,0]
	v_mov_b32_e32 v202, v196
	v_mov_b32_e32 v203, v199
	s_mov_b32 s48, s35
	s_mov_b32 s49, s10
	v_pk_fma_f32 v[172:173], v[88:89], s[14:15], v[174:175] op_sel:[0,0,1] op_sel_hi:[1,0,0]
	v_pk_fma_f32 v[174:175], v[88:89], s[14:15], v[174:175] op_sel:[0,0,1] op_sel_hi:[1,0,0] neg_lo:[0,0,1] neg_hi:[0,0,1]
	v_pk_add_f32 v[204:205], v[202:203], v[200:201]
	v_pk_mul_f32 v[202:203], v[100:101], s[50:51] op_sel_hi:[1,0]
	v_pk_fma_f32 v[144:145], v[36:37], s[16:17], v[146:147]
	v_pk_fma_f32 v[176:177], v[36:37], s[16:17], v[146:147] neg_lo:[1,0,0] neg_hi:[1,0,0]
	s_mov_b32 s34, s10
	v_pk_mul_f32 v[150:151], v[90:91], s[48:49]
	v_mov_b32_e32 v184, v172
	v_mov_b32_e32 v185, v175
	v_pk_fma_f32 v[200:201], v[96:97], s[14:15], v[202:203] op_sel:[0,0,1] op_sel_hi:[1,0,0]
	v_pk_fma_f32 v[202:203], v[96:97], s[14:15], v[202:203] op_sel:[0,0,1] op_sel_hi:[1,0,0] neg_lo:[0,0,1] neg_hi:[0,0,1]
	v_mov_b32_e32 v176, v144
	v_pk_fma_f32 v[148:149], v[42:43], s[34:35], v[150:151]
	v_pk_fma_f32 v[178:179], v[42:43], s[34:35], v[150:151] neg_lo:[1,0,0] neg_hi:[1,0,0]
	v_pk_mul_f32 v[154:155], v[86:87], s[52:53]
	v_pk_add_f32 v[182:183], v[184:185], v[182:183]
	s_mov_b32 s49, 0x3f7ee86f
	v_mov_b32_e32 v206, v200
	v_mov_b32_e32 v207, v203
	;; [unrolled: 1-line block ×3, first 2 shown]
	v_pk_fma_f32 v[152:153], v[48:49], s[24:25], v[154:155]
	v_pk_fma_f32 v[180:181], v[48:49], s[24:25], v[154:155] neg_lo:[1,0,0] neg_hi:[1,0,0]
	v_pk_add_f32 v[176:177], v[176:177], v[182:183]
	s_mov_b32 s56, s49
	s_mov_b32 s57, s22
	v_pk_add_f32 v[238:239], v[206:207], v[204:205]
	v_pk_mul_f32 v[206:207], v[94:95], s[46:47] op_sel_hi:[1,0]
	v_mov_b32_e32 v180, v152
	v_pk_add_f32 v[176:177], v[178:179], v[176:177]
	s_mov_b32 s48, s22
	v_pk_mul_f32 v[178:179], v[92:93], s[56:57]
	v_pk_fma_f32 v[204:205], v[88:89], s[18:19], v[206:207] op_sel:[0,0,1] op_sel_hi:[1,0,0]
	v_pk_fma_f32 v[206:207], v[88:89], s[18:19], v[206:207] op_sel:[0,0,1] op_sel_hi:[1,0,0] neg_lo:[0,0,1] neg_hi:[0,0,1]
	v_pk_mul_f32 v[248:249], v[130:131], s[40:41] op_sel_hi:[1,0]
	v_pk_add_f32 v[208:209], v[180:181], v[176:177]
	v_pk_fma_f32 v[176:177], v[36:37], s[48:49], v[178:179]
	v_mov_b32_e32 v25, v210
	v_mov_b32_e32 v29, v211
	v_pk_fma_f32 v[210:211], v[36:37], s[48:49], v[178:179] neg_lo:[1,0,0] neg_hi:[1,0,0]
	v_pk_mul_f32 v[182:183], v[90:91], s[30:31]
	v_mov_b32_e32 v240, v204
	v_mov_b32_e32 v241, v207
	v_pk_fma_f32 v[44:45], v[124:125], s[10:11], v[248:249] op_sel:[0,0,1] op_sel_hi:[1,0,0]
	v_pk_fma_f32 v[248:249], v[124:125], s[10:11], v[248:249] op_sel:[0,0,1] op_sel_hi:[1,0,0] neg_lo:[0,0,1] neg_hi:[0,0,1]
	v_pk_mul_f32 v[254:255], v[122:123], s[60:61] op_sel_hi:[1,0]
	v_mov_b32_e32 v210, v176
	v_pk_fma_f32 v[180:181], v[42:43], s[26:27], v[182:183]
	v_pk_fma_f32 v[234:235], v[42:43], s[26:27], v[182:183] neg_lo:[1,0,0] neg_hi:[1,0,0]
	v_pk_mul_f32 v[186:187], v[86:87], s[54:55]
	v_pk_add_f32 v[238:239], v[240:241], v[238:239]
	v_mov_b32_e32 v252, v44
	v_mov_b32_e32 v253, v249
	v_pk_fma_f32 v[38:39], v[114:115], s[20:21], v[254:255] op_sel:[0,0,1] op_sel_hi:[1,0,0]
	v_pk_fma_f32 v[254:255], v[114:115], s[20:21], v[254:255] op_sel:[0,0,1] op_sel_hi:[1,0,0] neg_lo:[0,0,1] neg_hi:[0,0,1]
	v_mov_b32_e32 v234, v180
	v_pk_fma_f32 v[184:185], v[48:49], s[10:11], v[186:187]
	v_pk_fma_f32 v[236:237], v[48:49], s[10:11], v[186:187] neg_lo:[1,0,0] neg_hi:[1,0,0]
	v_pk_add_f32 v[210:211], v[210:211], v[238:239]
	v_pk_add_f32 v[252:253], v[14:15], v[252:253]
	v_mov_b32_e32 v33, v212
	v_mov_b32_e32 v212, v38
	v_mov_b32_e32 v38, v213
	v_mov_b32_e32 v213, v255
	v_mov_b32_e32 v236, v184
	v_pk_add_f32 v[210:211], v[234:235], v[210:211]
	v_pk_add_f32 v[212:213], v[212:213], v[252:253]
	v_pk_mul_f32 v[252:253], v[106:107], s[30:31] op_sel_hi:[1,0]
	v_pk_add_f32 v[210:211], v[236:237], v[210:211]
	s_mov_b32 s45, s24
	v_pk_fma_f32 v[30:31], v[104:105], s[6:7], v[252:253] op_sel:[0,0,1] op_sel_hi:[1,0,0]
	v_pk_fma_f32 v[252:253], v[104:105], s[6:7], v[252:253] op_sel:[0,0,1] op_sel_hi:[1,0,0] neg_lo:[0,0,1] neg_hi:[0,0,1]
	ds_write2_b64 v229, v[208:209], v[210:211] offset0:4 offset1:5
	s_mov_b32 s51, s44
	v_pk_mul_f32 v[210:211], v[92:93], s[44:45]
	v_mov_b32_e32 v41, v216
	v_mov_b32_e32 v216, v30
	;; [unrolled: 1-line block ×4, first 2 shown]
	s_mov_b32 s44, s17
	v_pk_mul_f32 v[8:9], v[86:87], s[36:37]
	v_pk_add_f32 v[212:213], v[216:217], v[212:213]
	v_pk_mul_f32 v[216:217], v[100:101], s[44:45] op_sel_hi:[1,0]
	v_pk_fma_f32 v[46:47], v[48:49], s[14:15], v[8:9]
	v_pk_fma_f32 v[246:247], v[48:49], s[14:15], v[8:9] neg_lo:[1,0,0] neg_hi:[1,0,0]
	v_pk_fma_f32 v[26:27], v[96:97], s[16:17], v[216:217] op_sel:[0,0,1] op_sel_hi:[1,0,0]
	v_pk_fma_f32 v[216:217], v[96:97], s[16:17], v[216:217] op_sel:[0,0,1] op_sel_hi:[1,0,0] neg_lo:[0,0,1] neg_hi:[0,0,1]
	v_mov_b32_e32 v246, v46
	v_mov_b32_e32 v46, v220
	;; [unrolled: 1-line block ×5, first 2 shown]
	s_mov_b32 s54, s49
	v_pk_add_f32 v[212:213], v[220:221], v[212:213]
	v_pk_mul_f32 v[220:221], v[94:95], s[54:55] op_sel_hi:[1,0]
	s_mov_b32 s50, s24
	v_pk_fma_f32 v[22:23], v[88:89], s[22:23], v[220:221] op_sel:[0,0,1] op_sel_hi:[1,0,0]
	v_pk_fma_f32 v[220:221], v[88:89], s[22:23], v[220:221] op_sel:[0,0,1] op_sel_hi:[1,0,0] neg_lo:[0,0,1] neg_hi:[0,0,1]
	v_pk_fma_f32 v[208:209], v[36:37], s[50:51], v[210:211]
	v_pk_fma_f32 v[234:235], v[36:37], s[50:51], v[210:211] neg_lo:[1,0,0] neg_hi:[1,0,0]
	v_pk_mul_f32 v[236:237], v[90:91], s[42:43]
	v_mov_b32_e32 v54, v224
	v_mov_b32_e32 v224, v22
	;; [unrolled: 1-line block ×5, first 2 shown]
	v_pk_fma_f32 v[238:239], v[42:43], s[18:19], v[236:237]
	v_pk_fma_f32 v[240:241], v[42:43], s[18:19], v[236:237] neg_lo:[1,0,0] neg_hi:[1,0,0]
	v_pk_add_f32 v[212:213], v[224:225], v[212:213]
	v_mov_b32_e32 v240, v238
	v_pk_add_f32 v[212:213], v[234:235], v[212:213]
	v_pk_mul_f32 v[224:225], v[130:131], s[44:45] op_sel_hi:[1,0]
	v_pk_add_f32 v[212:213], v[240:241], v[212:213]
	s_mov_b32 s54, s15
	v_accvgpr_write_b32 a21, v7
	v_pk_add_f32 v[212:213], v[246:247], v[212:213]
	v_pk_fma_f32 v[234:235], v[124:125], s[16:17], v[224:225] op_sel:[0,0,1] op_sel_hi:[1,0,0]
	v_pk_fma_f32 v[224:225], v[124:125], s[16:17], v[224:225] op_sel:[0,0,1] op_sel_hi:[1,0,0] neg_lo:[0,0,1] neg_hi:[0,0,1]
	v_pk_mul_f32 v[246:247], v[122:123], s[54:55] op_sel_hi:[1,0]
	v_accvgpr_write_b32 a20, v6
	v_mov_b32_e32 v240, v234
	v_mov_b32_e32 v241, v225
	v_pk_fma_f32 v[6:7], v[114:115], s[14:15], v[246:247] op_sel:[0,0,1] op_sel_hi:[1,0,0]
	v_pk_fma_f32 v[246:247], v[114:115], s[14:15], v[246:247] op_sel:[0,0,1] op_sel_hi:[1,0,0] neg_lo:[0,0,1] neg_hi:[0,0,1]
	v_accvgpr_write_b32 a27, v5
	v_pk_add_f32 v[240:241], v[14:15], v[240:241]
	v_mov_b32_e32 v4, v6
	v_mov_b32_e32 v5, v247
	v_pk_add_f32 v[4:5], v[4:5], v[240:241]
	v_pk_mul_f32 v[240:241], v[106:107], s[38:39] op_sel_hi:[1,0]
	v_mov_b32_e32 v6, v116
	v_mov_b32_e32 v21, v117
	v_pk_fma_f32 v[116:117], v[104:105], s[22:23], v[240:241] op_sel:[0,0,1] op_sel_hi:[1,0,0]
	v_pk_fma_f32 v[240:241], v[104:105], s[22:23], v[240:241] op_sel:[0,0,1] op_sel_hi:[1,0,0] neg_lo:[0,0,1] neg_hi:[0,0,1]
	v_mov_b32_e32 v34, v116
	v_mov_b32_e32 v35, v241
	s_mov_b32 s38, s35
	v_pk_add_f32 v[4:5], v[34:35], v[4:5]
	v_pk_mul_f32 v[34:35], v[100:101], s[38:39] op_sel_hi:[1,0]
	v_mov_b32_e32 v16, v218
	v_pk_fma_f32 v[250:251], v[96:97], s[10:11], v[34:35] op_sel:[0,0,1] op_sel_hi:[1,0,0]
	v_pk_fma_f32 v[34:35], v[96:97], s[10:11], v[34:35] op_sel:[0,0,1] op_sel_hi:[1,0,0] neg_lo:[0,0,1] neg_hi:[0,0,1]
	v_mov_b32_e32 v244, v250
	v_mov_b32_e32 v245, v35
	v_pk_add_f32 v[4:5], v[244:245], v[4:5]
	v_pk_mul_f32 v[244:245], v[94:95], s[30:31] op_sel_hi:[1,0]
	v_mov_b32_e32 v26, v219
	v_pk_fma_f32 v[218:219], v[88:89], s[6:7], v[244:245] op_sel:[0,0,1] op_sel_hi:[1,0,0]
	v_pk_fma_f32 v[244:245], v[88:89], s[6:7], v[244:245] op_sel:[0,0,1] op_sel_hi:[1,0,0] neg_lo:[0,0,1] neg_hi:[0,0,1]
	v_mov_b32_e32 v116, v6
	v_mov_b32_e32 v6, v214
	;; [unrolled: 1-line block ×5, first 2 shown]
	v_pk_add_f32 v[4:5], v[214:215], v[4:5]
	v_pk_mul_f32 v[214:215], v[92:93], s[42:43]
	v_mov_b32_e32 v30, v222
	v_pk_fma_f32 v[232:233], v[36:37], s[18:19], v[214:215]
	v_mov_b32_e32 v35, v223
	v_pk_fma_f32 v[222:223], v[36:37], s[18:19], v[214:215] neg_lo:[1,0,0] neg_hi:[1,0,0]
	s_mov_b32 s29, s20
	v_mov_b32_e32 v222, v232
	v_pk_add_f32 v[4:5], v[222:223], v[4:5]
	v_pk_mul_f32 v[222:223], v[90:91], s[52:53]
	s_mov_b32 s30, s20
	v_pk_fma_f32 v[242:243], v[42:43], s[24:25], v[222:223]
	v_pk_fma_f32 v[226:227], v[42:43], s[24:25], v[222:223] neg_lo:[1,0,0] neg_hi:[1,0,0]
	s_mov_b32 s31, s28
	v_mov_b32_e32 v226, v242
	v_pk_add_f32 v[4:5], v[226:227], v[4:5]
	v_pk_mul_f32 v[226:227], v[86:87], s[28:29]
	v_pk_mul_f32 v[122:123], v[122:123], s[58:59] op_sel_hi:[1,0]
	v_pk_fma_f32 v[156:157], v[48:49], s[30:31], v[226:227]
	v_pk_fma_f32 v[118:119], v[48:49], s[30:31], v[226:227] neg_lo:[1,0,0] neg_hi:[1,0,0]
	v_pk_mul_f32 v[106:107], v[106:107], s[44:45] op_sel_hi:[1,0]
	v_mov_b32_e32 v118, v156
	v_pk_add_f32 v[4:5], v[118:119], v[4:5]
	ds_write2_b64 v229, v[212:213], v[4:5] offset0:6 offset1:7
	v_pk_mul_f32 v[4:5], v[130:131], s[46:47] op_sel_hi:[1,0]
	v_pk_mul_f32 v[100:101], v[100:101], s[52:53] op_sel_hi:[1,0]
	v_pk_fma_f32 v[118:119], v[124:125], s[18:19], v[4:5] op_sel:[0,0,1] op_sel_hi:[1,0,0]
	v_pk_fma_f32 v[4:5], v[124:125], s[18:19], v[4:5] op_sel:[0,0,1] op_sel_hi:[1,0,0] neg_lo:[0,0,1] neg_hi:[0,0,1]
	v_pk_fma_f32 v[124:125], v[114:115], s[6:7], v[122:123] op_sel:[0,0,1] op_sel_hi:[1,0,0]
	v_pk_fma_f32 v[114:115], v[114:115], s[6:7], v[122:123] op_sel:[0,0,1] op_sel_hi:[1,0,0] neg_lo:[0,0,1] neg_hi:[0,0,1]
	v_mov_b32_e32 v122, v118
	v_mov_b32_e32 v123, v5
	v_pk_add_f32 v[122:123], v[14:15], v[122:123]
	v_mov_b32_e32 v130, v124
	v_mov_b32_e32 v131, v115
	v_pk_add_f32 v[122:123], v[130:131], v[122:123]
	v_pk_fma_f32 v[130:131], v[104:105], s[16:17], v[106:107] op_sel:[0,0,1] op_sel_hi:[1,0,0]
	v_pk_fma_f32 v[104:105], v[104:105], s[16:17], v[106:107] op_sel:[0,0,1] op_sel_hi:[1,0,0] neg_lo:[0,0,1] neg_hi:[0,0,1]
	v_mov_b32_e32 v106, v130
	v_mov_b32_e32 v107, v105
	v_pk_add_f32 v[106:107], v[106:107], v[122:123]
	v_pk_fma_f32 v[122:123], v[96:97], s[24:25], v[100:101] op_sel:[0,0,1] op_sel_hi:[1,0,0]
	v_pk_fma_f32 v[96:97], v[96:97], s[24:25], v[100:101] op_sel:[0,0,1] op_sel_hi:[1,0,0] neg_lo:[0,0,1] neg_hi:[0,0,1]
	v_mov_b32_e32 v100, v122
	v_mov_b32_e32 v101, v97
	v_pk_mul_f32 v[94:95], v[94:95], s[40:41] op_sel_hi:[1,0]
	v_pk_add_f32 v[100:101], v[100:101], v[106:107]
	v_pk_fma_f32 v[106:107], v[88:89], s[10:11], v[94:95] op_sel:[0,0,1] op_sel_hi:[1,0,0]
	v_pk_fma_f32 v[88:89], v[88:89], s[10:11], v[94:95] op_sel:[0,0,1] op_sel_hi:[1,0,0] neg_lo:[0,0,1] neg_hi:[0,0,1]
	v_mov_b32_e32 v5, v119
	v_mov_b32_e32 v94, v106
	;; [unrolled: 1-line block ×3, first 2 shown]
	v_pk_mul_f32 v[92:93], v[92:93], s[36:37]
	v_mov_b32_e32 v115, v125
	v_pk_add_f32 v[4:5], v[14:15], v[4:5]
	v_pk_add_f32 v[94:95], v[94:95], v[100:101]
	v_pk_fma_f32 v[100:101], v[36:37], s[14:15], v[92:93]
	v_pk_fma_f32 v[212:213], v[36:37], s[14:15], v[92:93] neg_lo:[1,0,0] neg_hi:[1,0,0]
	v_pk_add_f32 v[4:5], v[114:115], v[4:5]
	v_mov_b32_e32 v105, v131
	v_mov_b32_e32 v212, v100
	v_pk_mul_f32 v[90:91], v[90:91], s[28:29]
	v_pk_add_f32 v[4:5], v[104:105], v[4:5]
	v_mov_b32_e32 v97, v123
	v_mov_b32_e32 v218, v16
	v_pk_add_f32 v[94:95], v[212:213], v[94:95]
	v_pk_fma_f32 v[16:17], v[42:43], s[30:31], v[90:91]
	v_pk_fma_f32 v[212:213], v[42:43], s[30:31], v[90:91] neg_lo:[1,0,0] neg_hi:[1,0,0]
	v_pk_fma_f32 v[92:93], v[36:37], s[14:15], v[92:93] neg_lo:[0,0,1] neg_hi:[0,0,1]
	v_pk_add_f32 v[4:5], v[96:97], v[4:5]
	v_mov_b32_e32 v89, v107
	v_mov_b32_e32 v212, v16
	v_pk_mul_f32 v[86:87], v[86:87], s[56:57]
	v_mov_b32_e32 v93, v101
	v_pk_fma_f32 v[90:91], v[42:43], s[30:31], v[90:91] neg_lo:[0,0,1] neg_hi:[0,0,1]
	v_pk_add_f32 v[4:5], v[88:89], v[4:5]
	v_pk_add_f32 v[94:95], v[212:213], v[94:95]
	v_pk_fma_f32 v[66:67], v[48:49], s[48:49], v[86:87]
	v_pk_fma_f32 v[212:213], v[48:49], s[48:49], v[86:87] neg_lo:[1,0,0] neg_hi:[1,0,0]
	v_mov_b32_e32 v91, v17
	v_pk_fma_f32 v[16:17], v[48:49], s[48:49], v[86:87] neg_lo:[0,0,1] neg_hi:[0,0,1]
	v_pk_add_f32 v[4:5], v[92:93], v[4:5]
	v_mov_b32_e32 v212, v66
	v_mov_b32_e32 v17, v67
	v_pk_add_f32 v[4:5], v[90:91], v[4:5]
	v_mov_b32_e32 v225, v235
	v_pk_add_f32 v[94:95], v[212:213], v[94:95]
	v_pk_add_f32 v[4:5], v[16:17], v[4:5]
	;; [unrolled: 1-line block ×3, first 2 shown]
	v_mov_b32_e32 v247, v7
	ds_write2_b64 v229, v[94:95], v[4:5] offset0:8 offset1:9
	v_pk_fma_f32 v[4:5], v[36:37], s[18:19], v[214:215] neg_lo:[0,0,1] neg_hi:[0,0,1]
	v_mov_b32_e32 v214, v6
	v_pk_add_f32 v[6:7], v[246:247], v[86:87]
	v_mov_b32_e32 v241, v117
	v_pk_fma_f32 v[16:17], v[42:43], s[24:25], v[222:223] neg_lo:[0,0,1] neg_hi:[0,0,1]
	v_mov_b32_e32 v223, v35
	v_pk_add_f32 v[6:7], v[240:241], v[6:7]
	v_mov_b32_e32 v35, v251
	v_mov_b32_e32 v249, v45
	v_pk_add_f32 v[6:7], v[34:35], v[6:7]
	v_pk_add_f32 v[34:35], v[14:15], v[248:249]
	v_mov_b32_e32 v255, v39
	v_mov_b32_e32 v245, v219
	v_pk_add_f32 v[34:35], v[254:255], v[34:35]
	v_mov_b32_e32 v253, v31
	v_mov_b32_e32 v5, v233
	;; [unrolled: 1-line block ×3, first 2 shown]
	v_pk_add_f32 v[6:7], v[244:245], v[6:7]
	v_pk_add_f32 v[30:31], v[252:253], v[34:35]
	v_mov_b32_e32 v217, v27
	v_mov_b32_e32 v17, v243
	;; [unrolled: 1-line block ×3, first 2 shown]
	v_pk_add_f32 v[4:5], v[4:5], v[6:7]
	v_pk_fma_f32 v[6:7], v[36:37], s[50:51], v[210:211] neg_lo:[0,0,1] neg_hi:[0,0,1]
	v_pk_add_f32 v[26:27], v[216:217], v[30:31]
	v_mov_b32_e32 v221, v23
	v_mov_b32_e32 v215, v22
	v_pk_add_f32 v[4:5], v[16:17], v[4:5]
	v_mov_b32_e32 v7, v209
	v_pk_fma_f32 v[16:17], v[42:43], s[18:19], v[236:237] neg_lo:[0,0,1] neg_hi:[0,0,1]
	v_pk_add_f32 v[22:23], v[220:221], v[26:27]
	v_mov_b32_e32 v17, v239
	v_pk_add_f32 v[6:7], v[6:7], v[22:23]
	v_mov_b32_e32 v191, v189
	v_pk_fma_f32 v[66:67], v[48:49], s[30:31], v[226:227] neg_lo:[0,0,1] neg_hi:[0,0,1]
	v_pk_fma_f32 v[8:9], v[48:49], s[14:15], v[8:9] neg_lo:[0,0,1] neg_hi:[0,0,1]
	v_pk_add_f32 v[6:7], v[16:17], v[6:7]
	v_pk_add_f32 v[16:17], v[14:15], v[190:191]
	v_mov_b32_e32 v195, v193
	v_mov_b32_e32 v67, v157
	;; [unrolled: 1-line block ×3, first 2 shown]
	v_pk_add_f32 v[16:17], v[194:195], v[16:17]
	v_mov_b32_e32 v199, v197
	v_pk_add_f32 v[4:5], v[66:67], v[4:5]
	v_pk_add_f32 v[6:7], v[8:9], v[6:7]
	;; [unrolled: 1-line block ×3, first 2 shown]
	v_mov_b32_e32 v203, v201
	v_mov_b32_e32 v159, v53
	ds_write2_b64 v229, v[4:5], v[6:7] offset0:10 offset1:11
	v_pk_fma_f32 v[4:5], v[36:37], s[48:49], v[178:179] neg_lo:[0,0,1] neg_hi:[0,0,1]
	v_pk_add_f32 v[16:17], v[202:203], v[16:17]
	v_mov_b32_e32 v207, v205
	v_pk_add_f32 v[22:23], v[14:15], v[158:159]
	v_mov_b32_e32 v163, v161
	v_mov_b32_e32 v5, v177
	v_pk_fma_f32 v[6:7], v[42:43], s[26:27], v[182:183] neg_lo:[0,0,1] neg_hi:[0,0,1]
	v_pk_add_f32 v[16:17], v[206:207], v[16:17]
	v_pk_add_f32 v[22:23], v[162:163], v[22:23]
	v_mov_b32_e32 v167, v165
	v_mov_b32_e32 v7, v181
	v_pk_fma_f32 v[8:9], v[48:49], s[10:11], v[186:187] neg_lo:[0,0,1] neg_hi:[0,0,1]
	v_pk_add_f32 v[4:5], v[4:5], v[16:17]
	v_pk_add_f32 v[22:23], v[166:167], v[22:23]
	v_mov_b32_e32 v171, v169
	v_mov_b32_e32 v9, v185
	v_pk_add_f32 v[4:5], v[6:7], v[4:5]
	v_pk_fma_f32 v[6:7], v[36:37], s[16:17], v[146:147] neg_lo:[0,0,1] neg_hi:[0,0,1]
	v_pk_add_f32 v[22:23], v[170:171], v[22:23]
	v_mov_b32_e32 v175, v173
	v_pk_add_f32 v[4:5], v[8:9], v[4:5]
	v_mov_b32_e32 v7, v145
	v_pk_fma_f32 v[8:9], v[42:43], s[34:35], v[150:151] neg_lo:[0,0,1] neg_hi:[0,0,1]
	v_pk_add_f32 v[22:23], v[174:175], v[22:23]
	v_mov_b32_e32 v9, v149
	v_pk_fma_f32 v[16:17], v[48:49], s[24:25], v[154:155] neg_lo:[0,0,1] neg_hi:[0,0,1]
	v_pk_add_f32 v[6:7], v[6:7], v[22:23]
	v_mov_b32_e32 v17, v153
	v_pk_add_f32 v[6:7], v[8:9], v[6:7]
	v_mov_b32_e32 v121, v55
	v_pk_add_f32 v[6:7], v[16:17], v[6:7]
	v_pk_add_f32 v[16:17], v[14:15], v[120:121]
	v_mov_b32_e32 v129, v127
	v_pk_add_f32 v[16:17], v[128:129], v[16:17]
	v_mov_b32_e32 v135, v133
	ds_write2_b64 v229, v[4:5], v[6:7] offset0:12 offset1:13
	v_pk_fma_f32 v[6:7], v[42:43], s[22:23], v[110:111] neg_lo:[0,0,1] neg_hi:[0,0,1]
	v_mov_b32_e32 v111, v69
	v_pk_add_f32 v[16:17], v[134:135], v[16:17]
	v_mov_b32_e32 v139, v137
	v_mov_b32_e32 v69, v59
	v_pk_fma_f32 v[4:5], v[36:37], s[26:27], v[102:103] neg_lo:[0,0,1] neg_hi:[0,0,1]
	v_pk_add_f32 v[16:17], v[138:139], v[16:17]
	v_mov_b32_e32 v143, v141
	v_pk_add_f32 v[22:23], v[14:15], v[68:69]
	v_mov_b32_e32 v73, v71
	v_mov_b32_e32 v5, v99
	v_pk_add_f32 v[16:17], v[142:143], v[16:17]
	v_pk_add_f32 v[22:23], v[72:73], v[22:23]
	v_mov_b32_e32 v77, v75
	v_mov_b32_e32 v7, v109
	v_pk_fma_f32 v[8:9], v[48:49], s[16:17], v[50:51] neg_lo:[0,0,1] neg_hi:[0,0,1]
	v_pk_add_f32 v[4:5], v[4:5], v[16:17]
	v_pk_add_f32 v[22:23], v[76:77], v[22:23]
	v_mov_b32_e32 v81, v79
	v_mov_b32_e32 v9, v113
	v_pk_add_f32 v[4:5], v[6:7], v[4:5]
	v_pk_fma_f32 v[6:7], v[36:37], s[20:21], v[56:57] neg_lo:[0,0,1] neg_hi:[0,0,1]
	v_pk_add_f32 v[22:23], v[80:81], v[22:23]
	v_mov_b32_e32 v85, v83
	v_pk_add_f32 v[4:5], v[8:9], v[4:5]
	v_accvgpr_read_b32 v7, a23
	v_pk_fma_f32 v[8:9], v[42:43], s[14:15], v[60:61] neg_lo:[0,0,1] neg_hi:[0,0,1]
	v_pk_add_f32 v[22:23], v[84:85], v[22:23]
	v_accvgpr_read_b32 v9, a25
	v_pk_fma_f32 v[16:17], v[48:49], s[6:7], v[64:65] neg_lo:[0,0,1] neg_hi:[0,0,1]
	v_pk_add_f32 v[6:7], v[6:7], v[22:23]
	v_accvgpr_read_b32 v17, a27
	v_pk_add_f32 v[6:7], v[8:9], v[6:7]
	v_mov_b32_e32 v216, v41
	v_pk_add_f32 v[6:7], v[16:17], v[6:7]
	v_accvgpr_read_b32 v41, a1
	v_mov_b32_e32 v117, v21
	ds_write2_b64 v229, v[4:5], v[6:7] offset0:14 offset1:15
	v_pk_add_f32 v[4:5], v[14:15], v[40:41]
	v_accvgpr_read_b32 v21, a3
	v_mov_b32_e32 v210, v25
	v_pk_add_f32 v[4:5], v[20:21], v[4:5]
	v_accvgpr_read_b32 v25, a5
	v_accvgpr_read_b32 v6, a12
	v_mov_b32_e32 v211, v29
	v_pk_add_f32 v[4:5], v[24:25], v[4:5]
	v_accvgpr_read_b32 v29, a7
	;; [unrolled: 4-line block ×3, first 2 shown]
	v_pk_fma_f32 v[6:7], v[36:37], s[10:11], v[6:7] neg_lo:[0,0,1] neg_hi:[0,0,1]
	v_pk_add_f32 v[4:5], v[32:33], v[4:5]
	v_accvgpr_read_b32 v7, a11
	v_pk_add_f32 v[4:5], v[6:7], v[4:5]
	v_accvgpr_read_b32 v6, a16
	v_accvgpr_read_b32 v7, a17
	v_pk_fma_f32 v[6:7], v[42:43], s[16:17], v[6:7] neg_lo:[0,0,1] neg_hi:[0,0,1]
	v_mov_b32_e32 v213, v38
	v_accvgpr_read_b32 v7, a15
	v_pk_add_f32 v[4:5], v[6:7], v[4:5]
	v_accvgpr_read_b32 v6, a20
	v_accvgpr_read_b32 v7, a21
	v_pk_fma_f32 v[6:7], v[48:49], s[18:19], v[6:7] neg_lo:[0,0,1] neg_hi:[0,0,1]
	v_mov_b32_e32 v225, v58
	v_accvgpr_read_b32 v7, a19
	v_mov_b32_e32 v224, v54
	v_mov_b32_e32 v217, v44
	;; [unrolled: 1-line block ×4, first 2 shown]
	v_pk_add_f32 v[4:5], v[6:7], v[4:5]
	ds_write_b64 v229, v[4:5] offset:128
.LBB0_13:
	s_or_b64 exec, exec, s[4:5]
	s_waitcnt lgkmcnt(0)
	s_barrier
	ds_read2_b64 v[4:7], v111 offset1:17
	ds_read2_b64 v[20:23], v111 offset0:34 offset1:51
	s_waitcnt lgkmcnt(1)
	v_pk_mul_f32 v[0:1], v[0:1], v[6:7]
	s_nop 0
	v_pk_fma_f32 v[8:9], v[18:19], v[6:7], v[0:1] op_sel:[0,0,1] op_sel_hi:[1,1,0]
	v_pk_fma_f32 v[0:1], v[18:19], v[6:7], v[0:1] op_sel:[0,0,1] op_sel_hi:[1,1,0] neg_lo:[0,0,1] neg_hi:[0,0,1]
	s_nop 0
	v_mov_b32_e32 v9, v1
	s_waitcnt lgkmcnt(0)
	v_pk_mul_f32 v[0:1], v[2:3], v[20:21]
	s_nop 0
	v_pk_fma_f32 v[2:3], v[62:63], v[20:21], v[0:1] op_sel:[0,0,1] op_sel_hi:[1,1,0]
	v_pk_fma_f32 v[0:1], v[62:63], v[20:21], v[0:1] op_sel:[0,0,1] op_sel_hi:[1,1,0] neg_lo:[0,0,1] neg_hi:[0,0,1]
	s_nop 0
	v_mov_b32_e32 v3, v1
	v_pk_mul_f32 v[0:1], v[12:13], v[22:23]
	s_nop 0
	v_pk_fma_f32 v[6:7], v[10:11], v[22:23], v[0:1] op_sel:[0,0,1] op_sel_hi:[1,1,0]
	v_pk_fma_f32 v[0:1], v[10:11], v[22:23], v[0:1] op_sel:[0,0,1] op_sel_hi:[1,1,0] neg_lo:[0,0,1] neg_hi:[0,0,1]
	s_nop 0
	v_mov_b32_e32 v7, v1
	v_pk_add_f32 v[0:1], v[4:5], v[2:3] neg_lo:[0,1] neg_hi:[0,1]
	s_nop 0
	v_pk_fma_f32 v[2:3], v[4:5], 2.0, v[0:1] op_sel_hi:[1,0,1] neg_lo:[0,0,1] neg_hi:[0,0,1]
	v_pk_add_f32 v[4:5], v[8:9], v[6:7] neg_lo:[0,1] neg_hi:[0,1]
	s_nop 0
	v_pk_fma_f32 v[6:7], v[8:9], 2.0, v[4:5] op_sel_hi:[1,0,1] neg_lo:[0,0,1] neg_hi:[0,0,1]
	v_pk_add_f32 v[8:9], v[0:1], v[4:5] op_sel:[0,1] op_sel_hi:[1,0]
	v_pk_add_f32 v[4:5], v[0:1], v[4:5] op_sel:[0,1] op_sel_hi:[1,0] neg_lo:[0,1] neg_hi:[0,1]
	v_pk_add_f32 v[6:7], v[2:3], v[6:7] neg_lo:[0,1] neg_hi:[0,1]
	v_mov_b32_e32 v9, v5
	v_pk_fma_f32 v[2:3], v[2:3], 2.0, v[6:7] op_sel_hi:[1,0,1] neg_lo:[0,0,1] neg_hi:[0,0,1]
	v_pk_fma_f32 v[0:1], v[0:1], 2.0, v[8:9] op_sel_hi:[1,0,1] neg_lo:[0,0,1] neg_hi:[0,0,1]
	ds_write2_b64 v230, v[2:3], v[0:1] offset1:17
	ds_write2_b64 v230, v[6:7], v[8:9] offset0:34 offset1:51
	s_waitcnt lgkmcnt(0)
	s_barrier
	s_and_b64 exec, exec, vcc
	s_cbranch_execz .LBB0_15
; %bb.14:
	global_load_dwordx2 v[2:3], v231, s[8:9]
	v_mad_u64_u32 v[4:5], s[4:5], s2, v224, 0
	ds_read_b64 v[6:7], v225
	v_mad_u64_u32 v[8:9], s[6:7], s0, v228, 0
	v_mov_b32_e32 v10, v5
	v_mov_b32_e32 v12, v9
	v_mad_u64_u32 v[10:11], s[2:3], s3, v224, v[10:11]
	v_mov_b32_e32 v0, s12
	v_mov_b32_e32 v1, s13
	;; [unrolled: 3-line block ×3, first 2 shown]
	v_lshl_add_u64 v[0:1], v[4:5], 3, v[0:1]
	v_lshl_add_u64 v[4:5], v[8:9], 3, v[0:1]
	s_mov_b32 s4, 0x1e1e1e1e
	s_mov_b32 s5, 0x3f8e1e1e
	s_waitcnt vmcnt(0) lgkmcnt(0)
	v_mul_f32_e32 v8, v7, v3
	v_mul_f32_e32 v3, v6, v3
	v_fmac_f32_e32 v8, v6, v2
	v_fma_f32 v6, v2, v7, -v3
	v_cvt_f64_f32_e32 v[2:3], v8
	v_cvt_f64_f32_e32 v[6:7], v6
	v_mul_f64 v[2:3], v[2:3], s[4:5]
	v_mul_f64 v[6:7], v[6:7], s[4:5]
	v_cvt_f32_f64_e32 v2, v[2:3]
	v_cvt_f32_f64_e32 v3, v[6:7]
	global_store_dwordx2 v[4:5], v[2:3], off
	global_load_dwordx2 v[6:7], v231, s[8:9] offset:32
	ds_read2_b64 v[2:5], v230 offset0:4 offset1:8
	v_mad_u64_u32 v[8:9], s[2:3], s0, v223, 0
	v_mov_b32_e32 v10, v9
	v_mad_u64_u32 v[10:11], s[2:3], s1, v223, v[10:11]
	v_mov_b32_e32 v9, v10
	v_lshl_add_u64 v[8:9], v[8:9], 3, v[0:1]
	s_waitcnt vmcnt(0) lgkmcnt(0)
	v_mul_f32_e32 v10, v3, v7
	v_mul_f32_e32 v7, v2, v7
	v_fmac_f32_e32 v10, v2, v6
	v_fma_f32 v6, v6, v3, -v7
	v_cvt_f64_f32_e32 v[2:3], v10
	v_cvt_f64_f32_e32 v[6:7], v6
	v_mul_f64 v[2:3], v[2:3], s[4:5]
	v_mul_f64 v[6:7], v[6:7], s[4:5]
	v_cvt_f32_f64_e32 v2, v[2:3]
	v_cvt_f32_f64_e32 v3, v[6:7]
	global_store_dwordx2 v[8:9], v[2:3], off
	global_load_dwordx2 v[2:3], v231, s[8:9] offset:64
	v_mad_u64_u32 v[6:7], s[2:3], s0, v222, 0
	v_mov_b32_e32 v8, v7
	v_mad_u64_u32 v[8:9], s[2:3], s1, v222, v[8:9]
	v_mov_b32_e32 v7, v8
	v_lshl_add_u64 v[6:7], v[6:7], 3, v[0:1]
	s_waitcnt vmcnt(0)
	v_mul_f32_e32 v8, v5, v3
	v_mul_f32_e32 v3, v4, v3
	v_fmac_f32_e32 v8, v4, v2
	v_fma_f32 v4, v2, v5, -v3
	v_cvt_f64_f32_e32 v[2:3], v8
	v_cvt_f64_f32_e32 v[4:5], v4
	v_mul_f64 v[2:3], v[2:3], s[4:5]
	v_mul_f64 v[4:5], v[4:5], s[4:5]
	v_cvt_f32_f64_e32 v2, v[2:3]
	v_cvt_f32_f64_e32 v3, v[4:5]
	global_store_dwordx2 v[6:7], v[2:3], off
	global_load_dwordx2 v[6:7], v231, s[8:9] offset:96
	ds_read2_b64 v[2:5], v230 offset0:12 offset1:16
	v_mad_u64_u32 v[8:9], s[2:3], s0, v221, 0
	v_mov_b32_e32 v10, v9
	v_mad_u64_u32 v[10:11], s[2:3], s1, v221, v[10:11]
	v_mov_b32_e32 v9, v10
	v_lshl_add_u64 v[8:9], v[8:9], 3, v[0:1]
	s_waitcnt vmcnt(0) lgkmcnt(0)
	v_mul_f32_e32 v10, v3, v7
	v_mul_f32_e32 v7, v2, v7
	v_fmac_f32_e32 v10, v2, v6
	v_fma_f32 v6, v6, v3, -v7
	v_cvt_f64_f32_e32 v[2:3], v10
	v_cvt_f64_f32_e32 v[6:7], v6
	v_mul_f64 v[2:3], v[2:3], s[4:5]
	v_mul_f64 v[6:7], v[6:7], s[4:5]
	v_cvt_f32_f64_e32 v2, v[2:3]
	v_cvt_f32_f64_e32 v3, v[6:7]
	global_store_dwordx2 v[8:9], v[2:3], off
	global_load_dwordx2 v[2:3], v231, s[8:9] offset:128
	v_mad_u64_u32 v[6:7], s[2:3], s0, v220, 0
	v_mov_b32_e32 v8, v7
	v_mad_u64_u32 v[8:9], s[2:3], s1, v220, v[8:9]
	v_mov_b32_e32 v7, v8
	v_lshl_add_u64 v[6:7], v[6:7], 3, v[0:1]
	s_waitcnt vmcnt(0)
	;; [unrolled: 37-line block ×8, first 2 shown]
	v_mul_f32_e32 v8, v5, v3
	v_mul_f32_e32 v3, v4, v3
	v_fmac_f32_e32 v8, v4, v2
	v_fma_f32 v4, v2, v5, -v3
	v_cvt_f64_f32_e32 v[2:3], v8
	v_cvt_f64_f32_e32 v[4:5], v4
	v_mul_f64 v[2:3], v[2:3], s[4:5]
	v_mul_f64 v[4:5], v[4:5], s[4:5]
	v_cvt_f32_f64_e32 v2, v[2:3]
	v_cvt_f32_f64_e32 v3, v[4:5]
	global_store_dwordx2 v[0:1], v[2:3], off
.LBB0_15:
	s_endpgm
	.section	.rodata,"a",@progbits
	.p2align	6, 0x0
	.amdhsa_kernel bluestein_single_fwd_len68_dim1_sp_op_CI_CI
		.amdhsa_group_segment_fixed_size 8160
		.amdhsa_private_segment_fixed_size 0
		.amdhsa_kernarg_size 104
		.amdhsa_user_sgpr_count 2
		.amdhsa_user_sgpr_dispatch_ptr 0
		.amdhsa_user_sgpr_queue_ptr 0
		.amdhsa_user_sgpr_kernarg_segment_ptr 1
		.amdhsa_user_sgpr_dispatch_id 0
		.amdhsa_user_sgpr_kernarg_preload_length 0
		.amdhsa_user_sgpr_kernarg_preload_offset 0
		.amdhsa_user_sgpr_private_segment_size 0
		.amdhsa_uses_dynamic_stack 0
		.amdhsa_enable_private_segment 0
		.amdhsa_system_sgpr_workgroup_id_x 1
		.amdhsa_system_sgpr_workgroup_id_y 0
		.amdhsa_system_sgpr_workgroup_id_z 0
		.amdhsa_system_sgpr_workgroup_info 0
		.amdhsa_system_vgpr_workitem_id 0
		.amdhsa_next_free_vgpr 284
		.amdhsa_next_free_sgpr 66
		.amdhsa_accum_offset 256
		.amdhsa_reserve_vcc 1
		.amdhsa_float_round_mode_32 0
		.amdhsa_float_round_mode_16_64 0
		.amdhsa_float_denorm_mode_32 3
		.amdhsa_float_denorm_mode_16_64 3
		.amdhsa_dx10_clamp 1
		.amdhsa_ieee_mode 1
		.amdhsa_fp16_overflow 0
		.amdhsa_tg_split 0
		.amdhsa_exception_fp_ieee_invalid_op 0
		.amdhsa_exception_fp_denorm_src 0
		.amdhsa_exception_fp_ieee_div_zero 0
		.amdhsa_exception_fp_ieee_overflow 0
		.amdhsa_exception_fp_ieee_underflow 0
		.amdhsa_exception_fp_ieee_inexact 0
		.amdhsa_exception_int_div_zero 0
	.end_amdhsa_kernel
	.text
.Lfunc_end0:
	.size	bluestein_single_fwd_len68_dim1_sp_op_CI_CI, .Lfunc_end0-bluestein_single_fwd_len68_dim1_sp_op_CI_CI
                                        ; -- End function
	.section	.AMDGPU.csdata,"",@progbits
; Kernel info:
; codeLenInByte = 13936
; NumSgprs: 72
; NumVgprs: 256
; NumAgprs: 28
; TotalNumVgprs: 284
; ScratchSize: 0
; MemoryBound: 0
; FloatMode: 240
; IeeeMode: 1
; LDSByteSize: 8160 bytes/workgroup (compile time only)
; SGPRBlocks: 8
; VGPRBlocks: 35
; NumSGPRsForWavesPerEU: 72
; NumVGPRsForWavesPerEU: 284
; AccumOffset: 256
; Occupancy: 1
; WaveLimiterHint : 1
; COMPUTE_PGM_RSRC2:SCRATCH_EN: 0
; COMPUTE_PGM_RSRC2:USER_SGPR: 2
; COMPUTE_PGM_RSRC2:TRAP_HANDLER: 0
; COMPUTE_PGM_RSRC2:TGID_X_EN: 1
; COMPUTE_PGM_RSRC2:TGID_Y_EN: 0
; COMPUTE_PGM_RSRC2:TGID_Z_EN: 0
; COMPUTE_PGM_RSRC2:TIDIG_COMP_CNT: 0
; COMPUTE_PGM_RSRC3_GFX90A:ACCUM_OFFSET: 63
; COMPUTE_PGM_RSRC3_GFX90A:TG_SPLIT: 0
	.text
	.p2alignl 6, 3212836864
	.fill 256, 4, 3212836864
	.type	__hip_cuid_d0cd2017cb3eb809,@object ; @__hip_cuid_d0cd2017cb3eb809
	.section	.bss,"aw",@nobits
	.globl	__hip_cuid_d0cd2017cb3eb809
__hip_cuid_d0cd2017cb3eb809:
	.byte	0                               ; 0x0
	.size	__hip_cuid_d0cd2017cb3eb809, 1

	.ident	"AMD clang version 19.0.0git (https://github.com/RadeonOpenCompute/llvm-project roc-6.4.0 25133 c7fe45cf4b819c5991fe208aaa96edf142730f1d)"
	.section	".note.GNU-stack","",@progbits
	.addrsig
	.addrsig_sym __hip_cuid_d0cd2017cb3eb809
	.amdgpu_metadata
---
amdhsa.kernels:
  - .agpr_count:     28
    .args:
      - .actual_access:  read_only
        .address_space:  global
        .offset:         0
        .size:           8
        .value_kind:     global_buffer
      - .actual_access:  read_only
        .address_space:  global
        .offset:         8
        .size:           8
        .value_kind:     global_buffer
      - .actual_access:  read_only
        .address_space:  global
        .offset:         16
        .size:           8
        .value_kind:     global_buffer
      - .actual_access:  read_only
        .address_space:  global
        .offset:         24
        .size:           8
        .value_kind:     global_buffer
      - .actual_access:  read_only
        .address_space:  global
        .offset:         32
        .size:           8
        .value_kind:     global_buffer
      - .offset:         40
        .size:           8
        .value_kind:     by_value
      - .address_space:  global
        .offset:         48
        .size:           8
        .value_kind:     global_buffer
      - .address_space:  global
        .offset:         56
        .size:           8
        .value_kind:     global_buffer
      - .address_space:  global
        .offset:         64
        .size:           8
        .value_kind:     global_buffer
      - .address_space:  global
        .offset:         72
        .size:           8
        .value_kind:     global_buffer
      - .offset:         80
        .size:           4
        .value_kind:     by_value
      - .address_space:  global
        .offset:         88
        .size:           8
        .value_kind:     global_buffer
      - .address_space:  global
        .offset:         96
        .size:           8
        .value_kind:     global_buffer
    .group_segment_fixed_size: 8160
    .kernarg_segment_align: 8
    .kernarg_segment_size: 104
    .language:       OpenCL C
    .language_version:
      - 2
      - 0
    .max_flat_workgroup_size: 255
    .name:           bluestein_single_fwd_len68_dim1_sp_op_CI_CI
    .private_segment_fixed_size: 0
    .sgpr_count:     72
    .sgpr_spill_count: 0
    .symbol:         bluestein_single_fwd_len68_dim1_sp_op_CI_CI.kd
    .uniform_work_group_size: 1
    .uses_dynamic_stack: false
    .vgpr_count:     284
    .vgpr_spill_count: 0
    .wavefront_size: 64
amdhsa.target:   amdgcn-amd-amdhsa--gfx950
amdhsa.version:
  - 1
  - 2
...

	.end_amdgpu_metadata
